;; amdgpu-corpus repo=zjin-lcf/HeCBench kind=compiled arch=gfx906 opt=O3
	.amdgcn_target "amdgcn-amd-amdhsa--gfx906"
	.amdhsa_code_object_version 6
	.text
	.protected	_Z20kernelUpdateParticlePfS_PKfS1_iff ; -- Begin function _Z20kernelUpdateParticlePfS_PKfS1_iff
	.globl	_Z20kernelUpdateParticlePfS_PKfS1_iff
	.p2align	8
	.type	_Z20kernelUpdateParticlePfS_PKfS1_iff,@function
_Z20kernelUpdateParticlePfS_PKfS1_iff:  ; @_Z20kernelUpdateParticlePfS_PKfS1_iff
; %bb.0:
	s_load_dword s7, s[4:5], 0x3c
	s_load_dwordx4 s[0:3], s[4:5], 0x20
	s_waitcnt lgkmcnt(0)
	s_and_b32 s3, s7, 0xffff
	s_mul_i32 s6, s6, s3
	v_add_u32_e32 v0, s6, v0
	s_mul_i32 s0, s0, 30
	v_cmp_gt_i32_e32 vcc, s0, v0
	s_and_saveexec_b64 s[6:7], vcc
	s_cbranch_execz .LBB0_2
; %bb.1:
	s_load_dwordx8 s[8:15], s[4:5], 0x0
	v_ashrrev_i32_e32 v1, 31, v0
	v_lshlrev_b64 v[1:2], 2, v[0:1]
	s_mov_b32 s0, 0x88888889
	v_mul_hi_i32 v8, v0, s0
	s_waitcnt lgkmcnt(0)
	v_mov_b32_e32 v4, s11
	v_add_co_u32_e32 v3, vcc, s10, v1
	v_addc_co_u32_e32 v4, vcc, v4, v2, vcc
	v_mov_b32_e32 v6, s13
	v_add_co_u32_e32 v5, vcc, s12, v1
	v_addc_co_u32_e32 v6, vcc, v6, v2, vcc
	global_load_dword v9, v[5:6], off
	v_add_u32_e32 v6, v8, v0
	v_lshrrev_b32_e32 v8, 31, v6
	v_ashrrev_i32_e32 v6, 4, v6
	v_add_u32_e32 v6, v6, v8
	v_mul_lo_u32 v6, v6, 30
	v_mov_b32_e32 v5, s9
	v_add_co_u32_e32 v1, vcc, s8, v1
	v_addc_co_u32_e32 v2, vcc, v5, v2, vcc
	v_sub_u32_e32 v5, v0, v6
	v_ashrrev_i32_e32 v6, 31, v5
	v_lshlrev_b64 v[5:6], 2, v[5:6]
	global_load_dword v8, v[1:2], off
	v_mov_b32_e32 v0, s15
	v_add_co_u32_e32 v5, vcc, s14, v5
	v_addc_co_u32_e32 v6, vcc, v0, v6, vcc
	global_load_dword v7, v[3:4], off
	global_load_dword v0, v[5:6], off
	v_mov_b32_e32 v5, 0x3fc00000
	v_mul_f32_e32 v6, s1, v5
	v_mul_f32_e32 v5, s2, v5
	s_waitcnt vmcnt(2)
	v_sub_f32_e32 v9, v9, v8
	v_mul_f32_e32 v6, v6, v9
	s_waitcnt vmcnt(1)
	v_fmac_f32_e32 v6, 0.5, v7
	s_waitcnt vmcnt(0)
	v_sub_f32_e32 v0, v0, v8
	v_fmac_f32_e32 v6, v5, v0
	v_add_f32_e32 v0, v8, v6
	global_store_dword v[3:4], v6, off
	global_store_dword v[1:2], v0, off
.LBB0_2:
	s_endpgm
	.section	.rodata,"a",@progbits
	.p2align	6, 0x0
	.amdhsa_kernel _Z20kernelUpdateParticlePfS_PKfS1_iff
		.amdhsa_group_segment_fixed_size 0
		.amdhsa_private_segment_fixed_size 0
		.amdhsa_kernarg_size 304
		.amdhsa_user_sgpr_count 6
		.amdhsa_user_sgpr_private_segment_buffer 1
		.amdhsa_user_sgpr_dispatch_ptr 0
		.amdhsa_user_sgpr_queue_ptr 0
		.amdhsa_user_sgpr_kernarg_segment_ptr 1
		.amdhsa_user_sgpr_dispatch_id 0
		.amdhsa_user_sgpr_flat_scratch_init 0
		.amdhsa_user_sgpr_private_segment_size 0
		.amdhsa_uses_dynamic_stack 0
		.amdhsa_system_sgpr_private_segment_wavefront_offset 0
		.amdhsa_system_sgpr_workgroup_id_x 1
		.amdhsa_system_sgpr_workgroup_id_y 0
		.amdhsa_system_sgpr_workgroup_id_z 0
		.amdhsa_system_sgpr_workgroup_info 0
		.amdhsa_system_vgpr_workitem_id 0
		.amdhsa_next_free_vgpr 10
		.amdhsa_next_free_sgpr 16
		.amdhsa_reserve_vcc 1
		.amdhsa_reserve_flat_scratch 0
		.amdhsa_float_round_mode_32 0
		.amdhsa_float_round_mode_16_64 0
		.amdhsa_float_denorm_mode_32 3
		.amdhsa_float_denorm_mode_16_64 3
		.amdhsa_dx10_clamp 1
		.amdhsa_ieee_mode 1
		.amdhsa_fp16_overflow 0
		.amdhsa_exception_fp_ieee_invalid_op 0
		.amdhsa_exception_fp_denorm_src 0
		.amdhsa_exception_fp_ieee_div_zero 0
		.amdhsa_exception_fp_ieee_overflow 0
		.amdhsa_exception_fp_ieee_underflow 0
		.amdhsa_exception_fp_ieee_inexact 0
		.amdhsa_exception_int_div_zero 0
	.end_amdhsa_kernel
	.text
.Lfunc_end0:
	.size	_Z20kernelUpdateParticlePfS_PKfS1_iff, .Lfunc_end0-_Z20kernelUpdateParticlePfS_PKfS1_iff
                                        ; -- End function
	.set _Z20kernelUpdateParticlePfS_PKfS1_iff.num_vgpr, 10
	.set _Z20kernelUpdateParticlePfS_PKfS1_iff.num_agpr, 0
	.set _Z20kernelUpdateParticlePfS_PKfS1_iff.numbered_sgpr, 16
	.set _Z20kernelUpdateParticlePfS_PKfS1_iff.num_named_barrier, 0
	.set _Z20kernelUpdateParticlePfS_PKfS1_iff.private_seg_size, 0
	.set _Z20kernelUpdateParticlePfS_PKfS1_iff.uses_vcc, 1
	.set _Z20kernelUpdateParticlePfS_PKfS1_iff.uses_flat_scratch, 0
	.set _Z20kernelUpdateParticlePfS_PKfS1_iff.has_dyn_sized_stack, 0
	.set _Z20kernelUpdateParticlePfS_PKfS1_iff.has_recursion, 0
	.set _Z20kernelUpdateParticlePfS_PKfS1_iff.has_indirect_call, 0
	.section	.AMDGPU.csdata,"",@progbits
; Kernel info:
; codeLenInByte = 284
; TotalNumSgprs: 20
; NumVgprs: 10
; ScratchSize: 0
; MemoryBound: 0
; FloatMode: 240
; IeeeMode: 1
; LDSByteSize: 0 bytes/workgroup (compile time only)
; SGPRBlocks: 2
; VGPRBlocks: 2
; NumSGPRsForWavesPerEU: 20
; NumVGPRsForWavesPerEU: 10
; Occupancy: 10
; WaveLimiterHint : 0
; COMPUTE_PGM_RSRC2:SCRATCH_EN: 0
; COMPUTE_PGM_RSRC2:USER_SGPR: 6
; COMPUTE_PGM_RSRC2:TRAP_HANDLER: 0
; COMPUTE_PGM_RSRC2:TGID_X_EN: 1
; COMPUTE_PGM_RSRC2:TGID_Y_EN: 0
; COMPUTE_PGM_RSRC2:TGID_Z_EN: 0
; COMPUTE_PGM_RSRC2:TIDIG_COMP_CNT: 0
	.text
	.protected	_Z17kernelUpdatePBestPKfPfS1_i ; -- Begin function _Z17kernelUpdatePBestPKfPfS1_i
	.globl	_Z17kernelUpdatePBestPKfPfS1_i
	.p2align	8
	.type	_Z17kernelUpdatePBestPKfPfS1_i,@function
_Z17kernelUpdatePBestPKfPfS1_i:         ; @_Z17kernelUpdatePBestPKfPfS1_i
; %bb.0:
	s_add_u32 s0, s0, s7
	s_load_dword s7, s[4:5], 0x2c
	s_load_dword s8, s[4:5], 0x18
	s_addc_u32 s1, s1, 0
	s_waitcnt lgkmcnt(0)
	s_and_b32 s7, s7, 0xffff
	s_mul_i32 s6, s6, s7
	v_add_u32_e32 v0, s6, v0
	v_cmp_gt_i32_e32 vcc, s8, v0
	s_and_saveexec_b64 s[6:7], vcc
	s_cbranch_execz .LBB1_212
; %bb.1:
	v_mul_lo_u32 v0, v0, 30
	s_load_dwordx4 s[8:11], s[4:5], 0x0
	s_mov_b32 s6, 0x3e800000
	v_ashrrev_i32_e32 v1, 31, v0
	v_lshlrev_b64 v[0:1], 2, v[0:1]
	s_waitcnt lgkmcnt(0)
	v_mov_b32_e32 v2, s11
	v_add_co_u32_e32 v42, vcc, s10, v0
	v_addc_co_u32_e32 v43, vcc, v2, v1, vcc
	global_load_dwordx4 v[44:47], v[42:43], off offset:16
	global_load_dwordx4 v[36:39], v[42:43], off offset:32
	;; [unrolled: 1-line block ×5, first 2 shown]
	v_mov_b32_e32 v2, s9
	v_add_co_u32_e32 v40, vcc, s8, v0
	v_addc_co_u32_e32 v41, vcc, v2, v1, vcc
	global_load_dwordx4 v[56:59], v[42:43], off offset:96
	global_load_dwordx4 v[24:27], v[40:41], off
	global_load_dwordx4 v[28:31], v[42:43], off
	global_load_dwordx4 v[20:23], v[40:41], off offset:16
	global_load_dwordx4 v[16:19], v[40:41], off offset:32
	;; [unrolled: 1-line block ×6, first 2 shown]
	s_nop 0
	global_load_dwordx2 v[40:41], v[40:41], off offset:112
	s_waitcnt vmcnt(14)
	buffer_store_dword v44, off, s[0:3], 0 offset:144
	buffer_store_dword v45, off, s[0:3], 0 offset:148
	;; [unrolled: 1-line block ×4, first 2 shown]
	global_load_dwordx2 v[44:45], v[42:43], off offset:112
	s_waitcnt vmcnt(18)
	buffer_store_dword v36, off, s[0:3], 0 offset:160
	buffer_store_dword v37, off, s[0:3], 0 offset:164
	buffer_store_dword v38, off, s[0:3], 0 offset:168
	buffer_store_dword v39, off, s[0:3], 0 offset:172
	s_waitcnt vmcnt(21)
	buffer_store_dword v32, off, s[0:3], 0 offset:176
	buffer_store_dword v33, off, s[0:3], 0 offset:180
	buffer_store_dword v34, off, s[0:3], 0 offset:184
	buffer_store_dword v35, off, s[0:3], 0 offset:188
	;; [unrolled: 5-line block ×5, first 2 shown]
	s_waitcnt vmcnt(33)
	buffer_store_dword v24, off, s[0:3], 0
	s_waitcnt vmcnt(33)
	buffer_store_dword v28, off, s[0:3], 0 offset:128
	buffer_store_dword v25, off, s[0:3], 0 offset:4
	;; [unrolled: 1-line block ×7, first 2 shown]
	s_waitcnt vmcnt(39)
	buffer_store_dword v20, off, s[0:3], 0 offset:16
	buffer_store_dword v21, off, s[0:3], 0 offset:20
	buffer_store_dword v22, off, s[0:3], 0 offset:24
	buffer_store_dword v23, off, s[0:3], 0 offset:28
	s_waitcnt vmcnt(42)
	buffer_store_dword v16, off, s[0:3], 0 offset:32
	buffer_store_dword v17, off, s[0:3], 0 offset:36
	buffer_store_dword v18, off, s[0:3], 0 offset:40
	buffer_store_dword v19, off, s[0:3], 0 offset:44
	;; [unrolled: 5-line block ×6, first 2 shown]
	s_waitcnt vmcnt(57)
	buffer_store_dword v40, off, s[0:3], 0 offset:112
	s_waitcnt vmcnt(53)
	buffer_store_dword v44, off, s[0:3], 0 offset:240
	buffer_store_dword v41, off, s[0:3], 0 offset:116
	;; [unrolled: 1-line block ×3, first 2 shown]
	v_add_f32_e32 v29, -1.0, v24
	v_fma_f32 v29, v29, s6, 1.0
	v_mul_f32_e32 v31, 0x40490e56, v29
	s_brev_b32 s6, 18
	v_cmp_nlt_f32_e64 s[14:15], |v31|, s6
	v_and_b32_e32 v32, 0x7fffffff, v31
                                        ; implicit-def: $vgpr30
                                        ; implicit-def: $vgpr33
	s_and_saveexec_b64 s[6:7], s[14:15]
	s_xor_b64 s[12:13], exec, s[6:7]
	s_cbranch_execz .LBB1_3
; %bb.2:
	v_and_b32_e32 v29, 0x7fffff, v32
	v_or_b32_e32 v44, 0x800000, v29
	s_mov_b32 s6, 0xfe5163ab
	v_mad_u64_u32 v[29:30], s[6:7], v44, s6, 0
	v_mov_b32_e32 v34, 0
	s_mov_b32 s6, 0x3c439041
	v_mov_b32_e32 v33, v30
	v_mad_u64_u32 v[35:36], s[6:7], v44, s6, v[33:34]
	s_mov_b32 s6, 0xdb629599
	v_lshrrev_b32_e32 v30, 23, v32
	v_mov_b32_e32 v33, v36
	v_mad_u64_u32 v[36:37], s[6:7], v44, s6, v[33:34]
	s_mov_b32 s6, 0xf534ddc0
	v_add_u32_e32 v30, 0xffffff88, v30
	v_mov_b32_e32 v33, v37
	v_mad_u64_u32 v[37:38], s[6:7], v44, s6, v[33:34]
	s_mov_b32 s6, 0xfc2757d1
	v_not_b32_e32 v46, 63
	v_mov_b32_e32 v33, v38
	v_mad_u64_u32 v[38:39], s[6:7], v44, s6, v[33:34]
	v_cmp_lt_u32_e32 vcc, 63, v30
	v_cndmask_b32_e32 v33, 0, v46, vcc
	v_add_u32_e32 v30, v33, v30
	v_mov_b32_e32 v33, v39
	s_mov_b32 s6, 0x4e441529
	v_mad_u64_u32 v[46:47], s[6:7], v44, s6, v[33:34]
	v_not_b32_e32 v48, 31
	v_cmp_lt_u32_e64 s[6:7], 31, v30
	v_cndmask_b32_e64 v33, 0, v48, s[6:7]
	v_add_u32_e32 v30, v33, v30
	v_mov_b32_e32 v33, v47
	s_mov_b32 s8, 0xa2f9836e
	v_mad_u64_u32 v[33:34], s[8:9], v44, s8, v[33:34]
	v_cmp_lt_u32_e64 s[8:9], 31, v30
	v_cndmask_b32_e64 v39, 0, v48, s[8:9]
	v_add_u32_e32 v30, v39, v30
	v_cndmask_b32_e32 v39, v46, v37, vcc
	v_cndmask_b32_e32 v33, v33, v38, vcc
	;; [unrolled: 1-line block ×3, first 2 shown]
	v_cndmask_b32_e64 v44, v33, v39, s[6:7]
	v_cndmask_b32_e64 v33, v34, v33, s[6:7]
	v_cndmask_b32_e32 v34, v38, v36, vcc
	v_cndmask_b32_e64 v38, v39, v34, s[6:7]
	v_cndmask_b32_e64 v33, v33, v44, s[8:9]
	v_cndmask_b32_e64 v39, v44, v38, s[8:9]
	v_sub_u32_e32 v44, 32, v30
	v_alignbit_b32 v46, v33, v39, v44
	v_cmp_eq_u32_e64 s[10:11], 0, v30
	v_cndmask_b32_e64 v30, v46, v33, s[10:11]
	v_cndmask_b32_e32 v33, v37, v35, vcc
	v_cndmask_b32_e64 v34, v34, v33, s[6:7]
	v_cndmask_b32_e64 v35, v38, v34, s[8:9]
	v_alignbit_b32 v37, v39, v35, v44
	v_cndmask_b32_e32 v29, v36, v29, vcc
	v_cndmask_b32_e64 v37, v37, v39, s[10:11]
	v_bfe_u32 v46, v30, 29, 1
	v_cndmask_b32_e64 v29, v33, v29, s[6:7]
	v_alignbit_b32 v38, v30, v37, 30
	v_sub_u32_e32 v47, 0, v46
	v_cndmask_b32_e64 v29, v34, v29, s[8:9]
	v_xor_b32_e32 v38, v38, v47
	v_alignbit_b32 v33, v35, v29, v44
	v_cndmask_b32_e64 v33, v33, v35, s[10:11]
	v_ffbh_u32_e32 v35, v38
	v_alignbit_b32 v34, v37, v33, 30
	v_min_u32_e32 v35, 32, v35
	v_alignbit_b32 v29, v33, v29, 30
	v_xor_b32_e32 v34, v34, v47
	v_sub_u32_e32 v36, 31, v35
	v_xor_b32_e32 v29, v29, v47
	v_alignbit_b32 v37, v38, v34, v36
	v_alignbit_b32 v29, v34, v29, v36
	;; [unrolled: 1-line block ×3, first 2 shown]
	v_ffbh_u32_e32 v34, v33
	v_min_u32_e32 v34, 32, v34
	v_lshrrev_b32_e32 v39, 29, v30
	v_not_b32_e32 v36, v34
	v_alignbit_b32 v29, v33, v29, v36
	v_lshlrev_b32_e32 v33, 31, v39
	v_or_b32_e32 v36, 0x33000000, v33
	v_add_lshl_u32 v34, v34, v35, 23
	v_lshrrev_b32_e32 v29, 9, v29
	v_sub_u32_e32 v34, v36, v34
	v_or_b32_e32 v33, 0.5, v33
	v_lshlrev_b32_e32 v35, 23, v35
	v_or_b32_e32 v29, v34, v29
	v_lshrrev_b32_e32 v34, 9, v37
	v_sub_u32_e32 v33, v33, v35
	v_or_b32_e32 v33, v34, v33
	s_mov_b32 s6, 0x3fc90fda
	v_mul_f32_e32 v34, 0x3fc90fda, v33
	v_fma_f32 v35, v33, s6, -v34
	v_fmac_f32_e32 v35, 0x33a22168, v33
	v_fmac_f32_e32 v35, 0x3fc90fda, v29
	v_lshrrev_b32_e32 v29, 30, v30
	v_add_f32_e32 v33, v34, v35
	v_add_u32_e32 v30, v46, v29
.LBB1_3:
	s_or_saveexec_b64 s[6:7], s[12:13]
	s_load_dwordx2 s[12:13], s[4:5], 0x10
	s_xor_b64 exec, exec, s[6:7]
	s_cbranch_execz .LBB1_5
; %bb.4:
	s_mov_b32 s4, 0x3f22f983
	v_mul_f32_e64 v29, |v31|, s4
	v_rndne_f32_e32 v29, v29
	s_mov_b32 s4, 0xbfc90fda
	v_cvt_i32_f32_e32 v30, v29
	v_fma_f32 v33, v29, s4, |v31|
	v_fmac_f32_e32 v33, 0xb3a22168, v29
	v_fmac_f32_e32 v33, 0xa7c234c4, v29
.LBB1_5:
	s_or_b64 exec, exec, s[6:7]
	v_mul_f32_e32 v34, v33, v33
	v_mov_b32_e32 v36, 0x3c0881c4
	v_fmac_f32_e32 v36, 0xb94c1982, v34
	v_mov_b32_e32 v35, 0xbe2aaa9d
	v_fma_f32 v36, v34, v36, v35
	v_mul_f32_e32 v36, v34, v36
	v_mov_b32_e32 v37, 0xbab64f3b
	v_fmac_f32_e32 v33, v33, v36
	v_fmac_f32_e32 v37, 0x37d75334, v34
	v_mov_b32_e32 v36, 0x3d2aabf7
	v_fma_f32 v38, v34, v37, v36
	v_mov_b32_e32 v37, 0xbf000004
	v_fma_f32 v38, v34, v38, v37
	v_fma_f32 v34, v34, v38, 1.0
	v_and_b32_e32 v38, 1, v30
	v_lshlrev_b32_e32 v30, 30, v30
	v_cmp_eq_u32_e32 vcc, 0, v38
	v_and_b32_e32 v30, 0x80000000, v30
	v_cndmask_b32_e32 v33, v34, v33, vcc
	v_xor_b32_e32 v30, v32, v30
	v_xor_b32_e32 v30, v30, v33
	s_movk_i32 s20, 0x1f8
	v_xor_b32_e32 v30, v30, v31
	v_mov_b32_e32 v38, 0x7fc00000
	v_cmp_class_f32_e64 vcc, v31, s20
	v_cndmask_b32_e32 v33, v38, v30, vcc
	v_cmp_eq_f32_e64 s[4:5], 1.0, v33
	v_frexp_mant_f32_e64 v30, |v33|
	s_mov_b32 s21, 0x3f2aaaab
	v_cndmask_b32_e64 v34, 2.0, 1.0, s[4:5]
	v_cmp_gt_f32_e64 s[4:5], s21, v30
	v_cndmask_b32_e64 v39, 1.0, 2.0, s[4:5]
	v_mul_f32_e32 v30, v30, v39
	v_add_f32_e32 v39, 1.0, v30
	v_rcp_f32_e32 v44, v39
	v_add_f32_e32 v46, -1.0, v30
	v_add_f32_e32 v47, -1.0, v39
	v_sub_f32_e32 v30, v30, v47
	v_mul_f32_e32 v47, v46, v44
	v_mul_f32_e32 v48, v39, v47
	v_fma_f32 v39, v47, v39, -v48
	v_fmac_f32_e32 v39, v47, v30
	v_add_f32_e32 v30, v48, v39
	v_sub_f32_e32 v49, v46, v30
	v_sub_f32_e32 v48, v30, v48
	;; [unrolled: 1-line block ×5, first 2 shown]
	v_add_f32_e32 v30, v39, v30
	v_add_f32_e32 v30, v49, v30
	v_mul_f32_e32 v30, v44, v30
	v_add_f32_e32 v44, v47, v30
	v_sub_f32_e32 v39, v44, v47
	v_sub_f32_e32 v48, v30, v39
	v_mul_f32_e32 v46, v44, v44
	v_fma_f32 v47, v44, v44, -v46
	v_add_f32_e32 v30, v48, v48
	v_fmac_f32_e32 v47, v44, v30
	v_add_f32_e32 v49, v46, v47
	v_sub_f32_e32 v46, v49, v46
	v_sub_f32_e32 v46, v47, v46
	v_mul_f32_e32 v47, v44, v49
	v_fma_f32 v51, v49, v44, -v47
	v_fmac_f32_e32 v51, v49, v48
	v_mov_b32_e32 v50, 0x3e91f4c4
	v_fmac_f32_e32 v51, v46, v44
	v_fmac_f32_e32 v50, 0x3e76c4e1, v49
	v_mov_b32_e32 v39, 0x3ecccdef
	v_add_f32_e32 v52, v47, v51
	v_fma_f32 v50, v49, v50, v39
	v_sub_f32_e32 v47, v52, v47
	v_sub_f32_e32 v51, v51, v47
	v_mul_f32_e32 v47, v49, v50
	v_fma_f32 v49, v49, v50, -v47
	v_fmac_f32_e32 v49, v46, v50
	v_add_f32_e32 v50, v47, v49
	v_sub_f32_e32 v46, v50, v47
	v_sub_f32_e32 v49, v49, v46
	v_cvt_f64_f32_e64 v[46:47], |v33|
	v_add_f32_e32 v53, 0x3f2aaaaa, v50
	v_add_f32_e32 v54, 0xbf2aaaaa, v53
	;; [unrolled: 1-line block ×3, first 2 shown]
	v_frexp_exp_i32_f64_e32 v46, v[46:47]
	v_sub_f32_e32 v50, v50, v54
	v_add_f32_e32 v47, v49, v50
	v_add_f32_e32 v49, v53, v47
	v_sub_f32_e32 v50, v53, v49
	v_add_f32_e32 v47, v47, v50
	v_mul_f32_e32 v50, v52, v49
	v_fma_f32 v53, v52, v49, -v50
	v_subbrev_co_u32_e64 v46, s[4:5], 0, v46, s[4:5]
	v_cvt_f32_i32_e32 v46, v46
	v_fmac_f32_e32 v53, v52, v47
	s_mov_b32 s22, 0x3f317218
	v_fmac_f32_e32 v53, v51, v49
	v_mul_f32_e32 v47, 0x3f317218, v46
	v_fma_f32 v49, v46, s22, -v47
	v_fmac_f32_e32 v49, 0xb102e308, v46
	v_ldexp_f32 v46, v48, 1
	v_add_f32_e32 v48, v47, v49
	v_sub_f32_e32 v47, v48, v47
	v_ldexp_f32 v44, v44, 1
	v_sub_f32_e32 v47, v49, v47
	v_add_f32_e32 v49, v50, v53
	v_sub_f32_e32 v50, v49, v50
	v_add_f32_e32 v51, v44, v49
	v_sub_f32_e32 v50, v53, v50
	v_sub_f32_e32 v44, v51, v44
	;; [unrolled: 1-line block ×3, first 2 shown]
	v_add_f32_e32 v46, v46, v50
	v_add_f32_e32 v44, v46, v44
	;; [unrolled: 1-line block ×3, first 2 shown]
	v_sub_f32_e32 v49, v46, v51
	v_sub_f32_e32 v44, v44, v49
	v_add_f32_e32 v49, v48, v46
	v_sub_f32_e32 v50, v49, v48
	v_sub_f32_e32 v51, v49, v50
	;; [unrolled: 1-line block ×4, first 2 shown]
	v_add_f32_e32 v46, v46, v48
	v_add_f32_e32 v48, v47, v44
	v_sub_f32_e32 v50, v48, v47
	v_sub_f32_e32 v51, v48, v50
	;; [unrolled: 1-line block ×4, first 2 shown]
	v_add_f32_e32 v46, v48, v46
	v_add_f32_e32 v44, v44, v47
	;; [unrolled: 1-line block ×3, first 2 shown]
	v_sub_f32_e32 v48, v47, v49
	v_sub_f32_e32 v46, v46, v48
	v_add_f32_e32 v44, v44, v46
	v_add_f32_e32 v46, v47, v44
	v_sub_f32_e32 v47, v46, v47
	v_sub_f32_e32 v44, v44, v47
	v_mul_f32_e32 v47, v34, v46
	v_fma_f32 v46, v34, v46, -v47
	v_fmac_f32_e32 v46, v34, v44
	s_movk_i32 s23, 0x204
	v_add_f32_e32 v44, v47, v46
	v_cmp_class_f32_e64 s[4:5], v47, s23
	v_sub_f32_e32 v48, v44, v47
	v_cndmask_b32_e64 v47, v44, v47, s[4:5]
	s_mov_b32 s25, 0x42b17218
	v_mov_b32_e32 v44, 0x37000000
	v_cmp_eq_f32_e64 s[4:5], s25, v47
	v_sub_f32_e32 v46, v46, v48
	v_cndmask_b32_e64 v48, 0, v44, s[4:5]
	v_sub_f32_e32 v49, v47, v48
	s_mov_b32 s26, 0x3fb8aa3b
	v_mul_f32_e32 v50, 0x3fb8aa3b, v49
	v_fma_f32 v51, v49, s26, -v50
	v_rndne_f32_e32 v52, v50
	v_fmac_f32_e32 v51, 0x32a5705f, v49
	v_sub_f32_e32 v50, v50, v52
	v_add_f32_e32 v50, v50, v51
	v_exp_f32_e32 v50, v50
	v_cvt_i32_f32_e32 v51, v52
	s_mov_b32 s24, 0x7f800000
	v_cmp_neq_f32_e64 s[4:5], |v47|, s24
	v_cndmask_b32_e64 v46, 0, v46, s[4:5]
	s_mov_b32 s27, 0xc2ce8ed0
	v_add_f32_e32 v47, v48, v46
	v_ldexp_f32 v46, v50, v51
	v_cmp_ngt_f32_e64 s[4:5], s27, v49
	v_cndmask_b32_e64 v48, 0, v46, s[4:5]
	v_mov_b32_e32 v46, 0x7f800000
	v_cmp_nlt_f32_e64 s[4:5], s25, v49
	v_cndmask_b32_e64 v48, v46, v48, s[4:5]
	v_fma_f32 v47, v48, v47, v48
	v_cmp_class_f32_e64 s[4:5], v48, s23
	v_cndmask_b32_e64 v47, v47, v48, s[4:5]
	v_trunc_f32_e32 v48, v34
	v_cmp_eq_f32_e64 s[4:5], v48, v34
	v_mul_f32_e32 v34, 0.5, v34
	v_trunc_f32_e32 v48, v34
	v_cmp_neq_f32_e64 s[6:7], v48, v34
	s_and_b64 s[6:7], s[4:5], s[6:7]
	v_cndmask_b32_e64 v34, 1.0, v33, s[6:7]
	s_brev_b32 s28, -2
	v_bfi_b32 v34, s28, v47, v34
	v_cndmask_b32_e64 v47, v38, v34, s[4:5]
	v_cmp_gt_f32_e64 s[4:5], 0, v33
	v_cndmask_b32_e64 v34, v34, v47, s[4:5]
	v_cmp_eq_f32_e64 s[4:5], 0, v33
	v_add_f32_e32 v29, -1.0, v41
	s_mov_b32 s18, 0x3e800000
	v_cmp_class_f32_e64 s[8:9], v33, s23
	v_cndmask_b32_e64 v47, v46, 0, s[4:5]
	v_cndmask_b32_e64 v48, 0, v33, s[6:7]
	v_fma_f32 v29, v29, s18, 1.0
	v_bfi_b32 v47, s28, v47, v48
	s_or_b64 s[4:5], s[4:5], s[8:9]
	v_cndmask_b32_e64 v34, v34, v47, s[4:5]
	v_cmp_o_f32_e64 s[4:5], v33, v33
	v_add_f32_e32 v29, -1.0, v29
	v_cndmask_b32_e64 v34, v38, v34, s[4:5]
	v_cmp_eq_f32_e64 s[4:5], 1.0, v29
	v_frexp_mant_f32_e64 v47, |v29|
	v_cndmask_b32_e64 v33, 2.0, 1.0, s[4:5]
	v_cmp_gt_f32_e64 s[4:5], s21, v47
	v_cndmask_b32_e64 v48, 1.0, 2.0, s[4:5]
	v_mul_f32_e32 v47, v47, v48
	v_add_f32_e32 v48, 1.0, v47
	v_rcp_f32_e32 v49, v48
	v_add_f32_e32 v50, -1.0, v47
	v_add_f32_e32 v51, -1.0, v48
	v_sub_f32_e32 v47, v47, v51
	v_mul_f32_e32 v51, v50, v49
	v_mul_f32_e32 v52, v48, v51
	v_fma_f32 v48, v51, v48, -v52
	v_fmac_f32_e32 v48, v51, v47
	v_add_f32_e32 v47, v52, v48
	v_sub_f32_e32 v53, v50, v47
	v_sub_f32_e32 v52, v47, v52
	;; [unrolled: 1-line block ×5, first 2 shown]
	v_add_f32_e32 v47, v48, v47
	v_add_f32_e32 v47, v53, v47
	v_mul_f32_e32 v47, v49, v47
	v_add_f32_e32 v49, v51, v47
	v_sub_f32_e32 v48, v49, v51
	v_sub_f32_e32 v50, v47, v48
	v_mul_f32_e32 v47, v49, v49
	v_fma_f32 v48, v49, v49, -v47
	v_add_f32_e32 v51, v50, v50
	v_fmac_f32_e32 v48, v49, v51
	v_add_f32_e32 v51, v47, v48
	v_sub_f32_e32 v47, v51, v47
	v_sub_f32_e32 v47, v48, v47
	v_mul_f32_e32 v48, v49, v51
	v_fma_f32 v52, v51, v49, -v48
	v_fmac_f32_e32 v52, v51, v50
	v_mov_b32_e32 v30, 0x3e91f4c4
	v_fmac_f32_e32 v52, v47, v49
	v_fmac_f32_e32 v30, 0x3e76c4e1, v51
	v_add_f32_e32 v53, v48, v52
	v_fma_f32 v30, v51, v30, v39
	v_sub_f32_e32 v48, v53, v48
	v_sub_f32_e32 v52, v52, v48
	v_mul_f32_e32 v48, v51, v30
	v_fma_f32 v51, v51, v30, -v48
	v_fmac_f32_e32 v51, v47, v30
	v_add_f32_e32 v30, v48, v51
	v_sub_f32_e32 v55, v30, v48
	v_cvt_f64_f32_e64 v[47:48], |v29|
	v_add_f32_e32 v54, 0x3f2aaaaa, v30
	v_sub_f32_e32 v51, v51, v55
	v_add_f32_e32 v55, 0xbf2aaaaa, v54
	v_frexp_exp_i32_f64_e32 v47, v[47:48]
	v_add_f32_e32 v51, 0x31739010, v51
	v_sub_f32_e32 v30, v30, v55
	v_add_f32_e32 v30, v51, v30
	v_add_f32_e32 v48, v54, v30
	v_sub_f32_e32 v51, v54, v48
	v_add_f32_e32 v30, v30, v51
	v_mul_f32_e32 v51, v53, v48
	v_subbrev_co_u32_e64 v47, s[4:5], 0, v47, s[4:5]
	v_cvt_f32_i32_e32 v47, v47
	v_fma_f32 v54, v53, v48, -v51
	v_fmac_f32_e32 v54, v53, v30
	v_fmac_f32_e32 v54, v52, v48
	v_mul_f32_e32 v30, 0x3f317218, v47
	v_fma_f32 v48, v47, s22, -v30
	v_fmac_f32_e32 v48, 0xb102e308, v47
	v_ldexp_f32 v47, v50, 1
	v_add_f32_e32 v50, v30, v48
	v_sub_f32_e32 v30, v50, v30
	v_ldexp_f32 v49, v49, 1
	v_sub_f32_e32 v30, v48, v30
	v_add_f32_e32 v48, v51, v54
	v_sub_f32_e32 v51, v48, v51
	v_add_f32_e32 v52, v49, v48
	v_sub_f32_e32 v51, v54, v51
	v_sub_f32_e32 v49, v52, v49
	;; [unrolled: 1-line block ×3, first 2 shown]
	v_add_f32_e32 v47, v47, v51
	v_add_f32_e32 v47, v47, v48
	;; [unrolled: 1-line block ×3, first 2 shown]
	v_sub_f32_e32 v49, v48, v52
	v_sub_f32_e32 v47, v47, v49
	v_add_f32_e32 v49, v50, v48
	v_sub_f32_e32 v51, v49, v50
	v_sub_f32_e32 v52, v49, v51
	;; [unrolled: 1-line block ×4, first 2 shown]
	v_add_f32_e32 v48, v48, v50
	v_add_f32_e32 v50, v30, v47
	v_sub_f32_e32 v51, v50, v30
	v_sub_f32_e32 v52, v50, v51
	;; [unrolled: 1-line block ×4, first 2 shown]
	v_add_f32_e32 v30, v47, v30
	v_add_f32_e32 v47, v50, v48
	;; [unrolled: 1-line block ×3, first 2 shown]
	v_sub_f32_e32 v49, v48, v49
	v_sub_f32_e32 v47, v47, v49
	v_add_f32_e32 v30, v30, v47
	v_add_f32_e32 v47, v48, v30
	v_sub_f32_e32 v48, v47, v48
	v_sub_f32_e32 v30, v30, v48
	v_mul_f32_e32 v48, v33, v47
	v_fma_f32 v47, v33, v47, -v48
	v_fmac_f32_e32 v47, v33, v30
	v_add_f32_e32 v30, v48, v47
	v_cmp_class_f32_e64 s[4:5], v48, s23
	v_sub_f32_e32 v49, v30, v48
	v_cndmask_b32_e64 v30, v30, v48, s[4:5]
	v_cmp_eq_f32_e64 s[4:5], s25, v30
	v_cndmask_b32_e64 v48, 0, v44, s[4:5]
	v_sub_f32_e32 v47, v47, v49
	v_sub_f32_e32 v49, v30, v48
	v_mul_f32_e32 v50, 0x3fb8aa3b, v49
	v_fma_f32 v51, v49, s26, -v50
	v_rndne_f32_e32 v52, v50
	v_fmac_f32_e32 v51, 0x32a5705f, v49
	v_sub_f32_e32 v50, v50, v52
	v_add_f32_e32 v50, v50, v51
	v_exp_f32_e32 v50, v50
	v_cvt_i32_f32_e32 v51, v52
	v_cmp_neq_f32_e64 s[4:5], |v30|, s24
	v_cndmask_b32_e64 v30, 0, v47, s[4:5]
	v_cmp_ngt_f32_e64 s[4:5], s27, v49
	v_ldexp_f32 v47, v50, v51
	v_cndmask_b32_e64 v47, 0, v47, s[4:5]
	v_cmp_nlt_f32_e64 s[4:5], s25, v49
	v_add_f32_e32 v30, v48, v30
	v_cndmask_b32_e64 v47, v46, v47, s[4:5]
	v_fma_f32 v30, v47, v30, v47
	v_cmp_class_f32_e64 s[4:5], v47, s23
	v_cndmask_b32_e64 v30, v30, v47, s[4:5]
	v_trunc_f32_e32 v47, v33
	v_cmp_eq_f32_e64 s[4:5], v47, v33
	v_mul_f32_e32 v33, 0.5, v33
	v_trunc_f32_e32 v47, v33
	v_cmp_neq_f32_e64 s[6:7], v47, v33
	s_and_b64 s[6:7], s[4:5], s[6:7]
	v_cndmask_b32_e64 v33, 1.0, v29, s[6:7]
	v_bfi_b32 v30, s28, v30, v33
	v_cndmask_b32_e64 v33, v38, v30, s[4:5]
	v_cmp_gt_f32_e64 s[4:5], 0, v29
	v_cndmask_b32_e64 v30, v30, v33, s[4:5]
	v_cmp_eq_f32_e64 s[4:5], 0, v29
	v_cmp_class_f32_e64 s[8:9], v29, s23
	v_cndmask_b32_e64 v33, v46, 0, s[4:5]
	v_cndmask_b32_e64 v47, 0, v29, s[6:7]
	v_bfi_b32 v33, s28, v33, v47
	s_or_b64 s[4:5], s[4:5], s[8:9]
	v_cndmask_b32_e64 v30, v30, v33, s[4:5]
	v_cmp_o_f32_e64 s[4:5], v29, v29
	v_cndmask_b32_e64 v33, v38, v30, s[4:5]
	s_mov_b32 s19, 0
	v_add_f32_e32 v34, v33, v34
	s_brev_b32 s29, 18
	s_mov_b32 s30, 0xfe5163ab
	v_mov_b32_e32 v30, 0
	s_mov_b32 s31, 0x3c439041
	s_mov_b32 s33, 0xdb629599
	s_mov_b32 s34, 0xf534ddc0
	s_mov_b32 s35, 0xfc2757d1
	s_mov_b32 s36, 0x4e441529
	s_mov_b32 s37, 0xa2f9836e
	s_mov_b32 s38, 0x3fc90fda
	s_mov_b32 s39, 0x3f22f983
	s_mov_b32 s40, 0xbfc90fda
	s_mov_b32 s41, 0x41200000
	v_not_b32_e32 v47, 63
	v_not_b32_e32 v48, 31
	s_branch .LBB1_7
.LBB1_6:                                ;   in Loop: Header=BB1_7 Depth=1
	s_or_b64 exec, exec, s[4:5]
	s_waitcnt vmcnt(0)
	v_add_f32_e32 v52, -1.0, v52
	v_fma_f32 v52, v52, s18, 1.0
	v_add_f32_e32 v52, -1.0, v52
	v_cmp_eq_f32_e64 s[4:5], 1.0, v52
	v_frexp_mant_f32_e64 v54, |v52|
	v_cndmask_b32_e64 v53, 2.0, 1.0, s[4:5]
	v_cmp_gt_f32_e64 s[4:5], s21, v54
	v_cndmask_b32_e64 v55, 1.0, 2.0, s[4:5]
	v_mul_f32_e32 v54, v54, v55
	v_add_f32_e32 v56, 1.0, v54
	v_add_f32_e32 v57, -1.0, v56
	v_add_f32_e32 v55, -1.0, v54
	v_sub_f32_e32 v54, v54, v57
	v_rcp_f32_e32 v57, v56
	v_cmp_gt_f32_e64 s[8:9], 0, v52
	v_xor_b32_e32 v50, v50, v49
	s_add_i32 s19, s19, 4
	v_mul_f32_e32 v58, v55, v57
	v_mul_f32_e32 v59, v56, v58
	v_fma_f32 v56, v58, v56, -v59
	v_fmac_f32_e32 v56, v58, v54
	v_add_f32_e32 v54, v59, v56
	v_sub_f32_e32 v60, v55, v54
	v_sub_f32_e32 v59, v54, v59
	;; [unrolled: 1-line block ×5, first 2 shown]
	v_add_f32_e32 v54, v55, v54
	v_add_f32_e32 v54, v60, v54
	v_mul_f32_e32 v54, v57, v54
	v_add_f32_e32 v56, v58, v54
	v_sub_f32_e32 v55, v56, v58
	v_sub_f32_e32 v57, v54, v55
	v_mul_f32_e32 v54, v56, v56
	v_fma_f32 v55, v56, v56, -v54
	v_add_f32_e32 v58, v57, v57
	v_fmac_f32_e32 v55, v56, v58
	v_add_f32_e32 v58, v54, v55
	v_sub_f32_e32 v54, v58, v54
	v_sub_f32_e32 v54, v55, v54
	v_mul_f32_e32 v55, v56, v58
	v_fma_f32 v60, v58, v56, -v55
	v_fmac_f32_e32 v60, v58, v57
	v_mov_b32_e32 v59, 0x3e91f4c4
	v_fmac_f32_e32 v60, v54, v56
	v_fmac_f32_e32 v59, 0x3e76c4e1, v58
	v_add_f32_e32 v61, v55, v60
	v_fma_f32 v59, v58, v59, v39
	v_sub_f32_e32 v55, v61, v55
	v_sub_f32_e32 v55, v60, v55
	v_mul_f32_e32 v60, v58, v59
	v_fma_f32 v58, v58, v59, -v60
	v_fmac_f32_e32 v58, v54, v59
	v_add_f32_e32 v54, v60, v58
	v_add_f32_e32 v59, 0x3f2aaaaa, v54
	v_sub_f32_e32 v60, v54, v60
	v_sub_f32_e32 v58, v58, v60
	v_add_f32_e32 v60, 0xbf2aaaaa, v59
	v_add_f32_e32 v58, 0x31739010, v58
	v_sub_f32_e32 v54, v54, v60
	v_add_f32_e32 v54, v58, v54
	v_add_f32_e32 v58, v59, v54
	v_sub_f32_e32 v59, v59, v58
	v_add_f32_e32 v54, v54, v59
	v_mul_f32_e32 v59, v61, v58
	v_fma_f32 v60, v61, v58, -v59
	v_fmac_f32_e32 v60, v61, v54
	v_fmac_f32_e32 v60, v55, v58
	v_cvt_f64_f32_e64 v[54:55], |v52|
	v_ldexp_f32 v56, v56, 1
	v_frexp_exp_i32_f64_e32 v54, v[54:55]
	v_subbrev_co_u32_e64 v54, s[4:5], 0, v54, s[4:5]
	v_cvt_f32_i32_e32 v54, v54
	v_mul_f32_e32 v55, 0x3f317218, v54
	v_fma_f32 v58, v54, s22, -v55
	v_fmac_f32_e32 v58, 0xb102e308, v54
	v_ldexp_f32 v54, v57, 1
	v_add_f32_e32 v57, v55, v58
	v_sub_f32_e32 v55, v57, v55
	v_sub_f32_e32 v55, v58, v55
	v_add_f32_e32 v58, v59, v60
	v_sub_f32_e32 v59, v58, v59
	v_sub_f32_e32 v59, v60, v59
	;; [unrolled: 3-line block ×3, first 2 shown]
	v_add_f32_e32 v54, v54, v59
	v_add_f32_e32 v54, v54, v56
	;; [unrolled: 1-line block ×3, first 2 shown]
	v_sub_f32_e32 v58, v56, v60
	v_sub_f32_e32 v54, v54, v58
	v_add_f32_e32 v58, v57, v56
	v_sub_f32_e32 v59, v58, v57
	v_sub_f32_e32 v60, v58, v59
	;; [unrolled: 1-line block ×4, first 2 shown]
	v_add_f32_e32 v56, v56, v57
	v_add_f32_e32 v57, v55, v54
	v_sub_f32_e32 v59, v57, v55
	v_sub_f32_e32 v60, v57, v59
	;; [unrolled: 1-line block ×4, first 2 shown]
	v_add_f32_e32 v54, v54, v55
	v_add_f32_e32 v55, v57, v56
	;; [unrolled: 1-line block ×3, first 2 shown]
	v_sub_f32_e32 v57, v56, v58
	v_sub_f32_e32 v55, v55, v57
	v_add_f32_e32 v54, v54, v55
	v_add_f32_e32 v55, v56, v54
	v_sub_f32_e32 v56, v55, v56
	v_sub_f32_e32 v54, v54, v56
	v_mul_f32_e32 v56, v53, v55
	v_fma_f32 v55, v53, v55, -v56
	v_fmac_f32_e32 v55, v53, v54
	v_add_f32_e32 v54, v56, v55
	v_cmp_class_f32_e64 s[4:5], v56, s23
	v_sub_f32_e32 v57, v54, v56
	v_cndmask_b32_e64 v54, v54, v56, s[4:5]
	v_sub_f32_e32 v55, v55, v57
	v_cmp_neq_f32_e64 s[4:5], |v54|, s24
	v_cndmask_b32_e64 v55, 0, v55, s[4:5]
	v_cmp_eq_f32_e64 s[4:5], s25, v54
	v_cndmask_b32_e64 v56, 0, v44, s[4:5]
	v_sub_f32_e32 v54, v54, v56
	v_add_f32_e32 v55, v56, v55
	v_mul_f32_e32 v56, 0x3fb8aa3b, v54
	v_fma_f32 v57, v54, s26, -v56
	v_rndne_f32_e32 v58, v56
	v_fmac_f32_e32 v57, 0x32a5705f, v54
	v_sub_f32_e32 v56, v56, v58
	v_add_f32_e32 v56, v56, v57
	v_exp_f32_e32 v56, v56
	v_cvt_i32_f32_e32 v57, v58
	v_cmp_ngt_f32_e64 s[4:5], s27, v54
	v_ldexp_f32 v56, v56, v57
	v_cndmask_b32_e64 v56, 0, v56, s[4:5]
	v_cmp_nlt_f32_e64 s[4:5], s25, v54
	v_cndmask_b32_e64 v54, v46, v56, s[4:5]
	v_fma_f32 v55, v54, v55, v54
	v_cmp_class_f32_e64 s[4:5], v54, s23
	v_cndmask_b32_e64 v54, v55, v54, s[4:5]
	v_trunc_f32_e32 v55, v53
	v_cmp_eq_f32_e64 s[4:5], v55, v53
	v_mul_f32_e32 v53, 0.5, v53
	v_trunc_f32_e32 v55, v53
	v_cmp_neq_f32_e64 s[6:7], v55, v53
	s_and_b64 s[6:7], s[4:5], s[6:7]
	v_cndmask_b32_e64 v53, 1.0, v52, s[6:7]
	v_bfi_b32 v53, s28, v54, v53
	v_cndmask_b32_e64 v54, v38, v53, s[4:5]
	v_cmp_eq_f32_e64 s[4:5], 0, v52
	v_cndmask_b32_e64 v53, v53, v54, s[8:9]
	v_cmp_class_f32_e64 s[8:9], v52, s23
	v_cndmask_b32_e64 v54, v46, 0, s[4:5]
	v_cndmask_b32_e64 v55, 0, v52, s[6:7]
	s_or_b64 s[8:9], s[4:5], s[8:9]
	v_bfi_b32 v54, s28, v54, v55
	v_cndmask_b32_e64 v53, v53, v54, s[8:9]
	v_cmp_o_f32_e64 s[4:5], v52, v52
	v_cndmask_b32_e64 v52, v38, v53, s[4:5]
	v_mul_f32_e32 v53, v51, v51
	v_mov_b32_e32 v54, 0x3c0881c4
	v_fmac_f32_e32 v54, 0xb94c1982, v53
	v_fma_f32 v54, v53, v54, v35
	v_mul_f32_e32 v54, v53, v54
	v_fmac_f32_e32 v51, v51, v54
	v_mov_b32_e32 v54, 0xbab64f3b
	v_fmac_f32_e32 v54, 0x37d75334, v53
	v_fma_f32 v54, v53, v54, v36
	v_fma_f32 v54, v53, v54, v37
	v_fma_f32 v53, v53, v54, 1.0
	v_and_b32_e32 v54, 1, v29
	v_lshlrev_b32_e32 v29, 30, v29
	v_cmp_eq_u32_e64 s[4:5], 0, v54
	v_and_b32_e32 v29, 0x80000000, v29
	v_cndmask_b32_e64 v51, v53, v51, s[4:5]
	v_xor_b32_e32 v29, v50, v29
	v_xor_b32_e32 v29, v29, v51
	v_cmp_class_f32_e64 s[4:5], v49, s20
	v_cndmask_b32_e64 v29, v38, v29, s[4:5]
	v_cmp_eq_f32_e64 s[4:5], 1.0, v29
	v_frexp_mant_f32_e64 v50, |v29|
	v_cndmask_b32_e64 v49, 2.0, 1.0, s[4:5]
	v_cmp_gt_f32_e64 s[4:5], s21, v50
	v_cndmask_b32_e64 v51, 1.0, 2.0, s[4:5]
	v_mul_f32_e32 v50, v50, v51
	v_add_f32_e32 v53, 1.0, v50
	v_add_f32_e32 v54, -1.0, v53
	v_add_f32_e32 v51, -1.0, v50
	v_sub_f32_e32 v50, v50, v54
	v_rcp_f32_e32 v54, v53
	v_cmp_gt_f32_e64 s[8:9], 0, v29
	v_mul_f32_e32 v55, v51, v54
	v_mul_f32_e32 v56, v53, v55
	v_fma_f32 v53, v55, v53, -v56
	v_fmac_f32_e32 v53, v55, v50
	v_add_f32_e32 v50, v56, v53
	v_sub_f32_e32 v57, v51, v50
	v_sub_f32_e32 v56, v50, v56
	;; [unrolled: 1-line block ×5, first 2 shown]
	v_add_f32_e32 v50, v51, v50
	v_add_f32_e32 v50, v57, v50
	v_mul_f32_e32 v50, v54, v50
	v_add_f32_e32 v53, v55, v50
	v_sub_f32_e32 v51, v53, v55
	v_sub_f32_e32 v54, v50, v51
	v_mul_f32_e32 v50, v53, v53
	v_fma_f32 v51, v53, v53, -v50
	v_add_f32_e32 v55, v54, v54
	v_fmac_f32_e32 v51, v53, v55
	v_add_f32_e32 v55, v50, v51
	v_sub_f32_e32 v50, v55, v50
	v_sub_f32_e32 v50, v51, v50
	v_mul_f32_e32 v51, v53, v55
	v_fma_f32 v57, v55, v53, -v51
	v_fmac_f32_e32 v57, v55, v54
	v_mov_b32_e32 v56, 0x3e91f4c4
	v_fmac_f32_e32 v57, v50, v53
	v_fmac_f32_e32 v56, 0x3e76c4e1, v55
	v_add_f32_e32 v58, v51, v57
	v_fma_f32 v56, v55, v56, v39
	v_sub_f32_e32 v51, v58, v51
	v_sub_f32_e32 v51, v57, v51
	v_mul_f32_e32 v57, v55, v56
	v_fma_f32 v55, v55, v56, -v57
	v_fmac_f32_e32 v55, v50, v56
	v_add_f32_e32 v50, v57, v55
	v_add_f32_e32 v56, 0x3f2aaaaa, v50
	v_sub_f32_e32 v57, v50, v57
	v_sub_f32_e32 v55, v55, v57
	v_add_f32_e32 v57, 0xbf2aaaaa, v56
	v_add_f32_e32 v55, 0x31739010, v55
	v_sub_f32_e32 v50, v50, v57
	v_add_f32_e32 v50, v55, v50
	v_add_f32_e32 v55, v56, v50
	v_sub_f32_e32 v56, v56, v55
	v_add_f32_e32 v50, v50, v56
	v_mul_f32_e32 v56, v58, v55
	v_fma_f32 v57, v58, v55, -v56
	v_fmac_f32_e32 v57, v58, v50
	v_fmac_f32_e32 v57, v51, v55
	v_cvt_f64_f32_e64 v[50:51], |v29|
	v_ldexp_f32 v53, v53, 1
	v_frexp_exp_i32_f64_e32 v50, v[50:51]
	v_subbrev_co_u32_e64 v50, s[4:5], 0, v50, s[4:5]
	v_cvt_f32_i32_e32 v50, v50
	v_mul_f32_e32 v51, 0x3f317218, v50
	v_fma_f32 v55, v50, s22, -v51
	v_fmac_f32_e32 v55, 0xb102e308, v50
	v_ldexp_f32 v50, v54, 1
	v_add_f32_e32 v54, v51, v55
	v_sub_f32_e32 v51, v54, v51
	v_sub_f32_e32 v51, v55, v51
	v_add_f32_e32 v55, v56, v57
	v_sub_f32_e32 v56, v55, v56
	v_sub_f32_e32 v56, v57, v56
	;; [unrolled: 3-line block ×3, first 2 shown]
	v_add_f32_e32 v50, v50, v56
	v_add_f32_e32 v50, v50, v53
	;; [unrolled: 1-line block ×3, first 2 shown]
	v_sub_f32_e32 v55, v53, v57
	v_sub_f32_e32 v50, v50, v55
	v_add_f32_e32 v55, v54, v53
	v_sub_f32_e32 v56, v55, v54
	v_sub_f32_e32 v57, v55, v56
	;; [unrolled: 1-line block ×4, first 2 shown]
	v_add_f32_e32 v53, v53, v54
	v_add_f32_e32 v54, v51, v50
	v_sub_f32_e32 v56, v54, v51
	v_sub_f32_e32 v57, v54, v56
	;; [unrolled: 1-line block ×4, first 2 shown]
	v_add_f32_e32 v50, v50, v51
	v_add_f32_e32 v51, v54, v53
	;; [unrolled: 1-line block ×3, first 2 shown]
	v_sub_f32_e32 v54, v53, v55
	v_sub_f32_e32 v51, v51, v54
	v_add_f32_e32 v50, v50, v51
	v_add_f32_e32 v51, v53, v50
	v_sub_f32_e32 v53, v51, v53
	v_sub_f32_e32 v50, v50, v53
	v_mul_f32_e32 v53, v49, v51
	v_fma_f32 v51, v49, v51, -v53
	v_fmac_f32_e32 v51, v49, v50
	v_add_f32_e32 v50, v53, v51
	v_cmp_class_f32_e64 s[4:5], v53, s23
	v_sub_f32_e32 v54, v50, v53
	v_cndmask_b32_e64 v50, v50, v53, s[4:5]
	v_sub_f32_e32 v51, v51, v54
	v_cmp_neq_f32_e64 s[4:5], |v50|, s24
	v_cndmask_b32_e64 v51, 0, v51, s[4:5]
	v_cmp_eq_f32_e64 s[4:5], s25, v50
	v_cndmask_b32_e64 v53, 0, v44, s[4:5]
	v_sub_f32_e32 v50, v50, v53
	v_add_f32_e32 v51, v53, v51
	v_mul_f32_e32 v53, 0x3fb8aa3b, v50
	v_fma_f32 v54, v50, s26, -v53
	v_rndne_f32_e32 v55, v53
	v_fmac_f32_e32 v54, 0x32a5705f, v50
	v_sub_f32_e32 v53, v53, v55
	v_add_f32_e32 v53, v53, v54
	v_exp_f32_e32 v53, v53
	v_cvt_i32_f32_e32 v54, v55
	v_cmp_ngt_f32_e64 s[4:5], s27, v50
	v_ldexp_f32 v53, v53, v54
	v_cndmask_b32_e64 v53, 0, v53, s[4:5]
	v_cmp_nlt_f32_e64 s[4:5], s25, v50
	v_cndmask_b32_e64 v50, v46, v53, s[4:5]
	v_fma_f32 v51, v50, v51, v50
	v_cmp_class_f32_e64 s[4:5], v50, s23
	v_cndmask_b32_e64 v50, v51, v50, s[4:5]
	v_trunc_f32_e32 v51, v49
	v_cmp_eq_f32_e64 s[4:5], v51, v49
	v_mul_f32_e32 v49, 0.5, v49
	v_trunc_f32_e32 v51, v49
	v_cmp_neq_f32_e64 s[6:7], v51, v49
	s_and_b64 s[6:7], s[4:5], s[6:7]
	v_cndmask_b32_e64 v49, 1.0, v29, s[6:7]
	v_bfi_b32 v49, s28, v50, v49
	v_cndmask_b32_e64 v50, v38, v49, s[4:5]
	v_cmp_eq_f32_e64 s[4:5], 0, v29
	v_cndmask_b32_e64 v49, v49, v50, s[8:9]
	v_cmp_class_f32_e64 s[8:9], v29, s23
	v_cndmask_b32_e64 v50, v46, 0, s[4:5]
	v_cndmask_b32_e64 v51, 0, v29, s[6:7]
	s_or_b64 s[8:9], s[4:5], s[8:9]
	v_bfi_b32 v50, s28, v50, v51
	v_cndmask_b32_e64 v49, v49, v50, s[8:9]
	v_fma_f32 v49, v49, s41, 1.0
	v_cmp_o_f32_e64 s[4:5], v29, v29
	v_cndmask_b32_e64 v29, v38, v49, s[4:5]
	v_fmac_f32_e32 v34, v52, v29
	s_cmpk_lg_i32 s19, 0x74
	s_cbranch_scc0 .LBB1_11
.LBB1_7:                                ; =>This Inner Loop Header: Depth=1
	v_mov_b32_e32 v29, s19
	buffer_load_dword v49, v29, s[0:3], 0 offen offset:4
	buffer_load_dword v52, v29, s[0:3], 0 offen
                                        ; implicit-def: $vgpr51
	s_waitcnt vmcnt(1)
	v_add_f32_e32 v29, -1.0, v49
	v_fma_f32 v29, v29, s18, 1.0
	v_mul_f32_e32 v49, 0x40490e56, v29
	v_and_b32_e32 v50, 0x7fffffff, v49
	v_cmp_nlt_f32_e64 s[4:5], |v49|, s29
                                        ; implicit-def: $vgpr29
	s_and_saveexec_b64 s[6:7], s[4:5]
	s_xor_b64 s[16:17], exec, s[6:7]
	s_cbranch_execz .LBB1_9
; %bb.8:                                ;   in Loop: Header=BB1_7 Depth=1
	v_and_b32_e32 v29, 0x7fffff, v50
	v_or_b32_e32 v51, 0x800000, v29
	v_mad_u64_u32 v[53:54], s[4:5], v51, s30, 0
	v_mov_b32_e32 v29, v54
	v_mad_u64_u32 v[54:55], s[4:5], v51, s31, v[29:30]
	v_mov_b32_e32 v29, v55
	;; [unrolled: 2-line block ×3, first 2 shown]
	v_mad_u64_u32 v[56:57], s[4:5], v51, s34, v[29:30]
	v_lshrrev_b32_e32 v29, 23, v50
	v_add_u32_e32 v59, 0xffffff88, v29
	v_mov_b32_e32 v29, v57
	v_mad_u64_u32 v[57:58], s[4:5], v51, s35, v[29:30]
	v_cmp_lt_u32_e64 s[4:5], 63, v59
	v_cndmask_b32_e64 v29, 0, v47, s[4:5]
	v_add_u32_e32 v60, v29, v59
	v_mov_b32_e32 v29, v58
	v_mad_u64_u32 v[58:59], s[6:7], v51, s36, v[29:30]
	v_cmp_lt_u32_e64 s[6:7], 31, v60
	v_cndmask_b32_e64 v29, 0, v48, s[6:7]
	;; [unrolled: 5-line block ×3, first 2 shown]
	v_cndmask_b32_e64 v51, v58, v56, s[4:5]
	v_cndmask_b32_e64 v59, v59, v57, s[4:5]
	;; [unrolled: 1-line block ×4, first 2 shown]
	v_add_u32_e32 v29, v29, v61
	v_cndmask_b32_e64 v60, v59, v51, s[6:7]
	v_cndmask_b32_e64 v58, v58, v59, s[6:7]
	;; [unrolled: 1-line block ×6, first 2 shown]
	v_sub_u32_e32 v60, 32, v29
	v_cndmask_b32_e64 v56, v57, v54, s[6:7]
	v_alignbit_b32 v61, v58, v59, v60
	v_cmp_eq_u32_e64 s[10:11], 0, v29
	v_cndmask_b32_e64 v51, v51, v56, s[8:9]
	v_cndmask_b32_e64 v29, v61, v58, s[10:11]
	v_alignbit_b32 v57, v59, v51, v60
	v_cndmask_b32_e64 v53, v55, v53, s[4:5]
	v_cndmask_b32_e64 v57, v57, v59, s[10:11]
	v_bfe_u32 v61, v29, 29, 1
	v_cndmask_b32_e64 v53, v54, v53, s[6:7]
	v_alignbit_b32 v58, v29, v57, 30
	v_sub_u32_e32 v62, 0, v61
	v_cndmask_b32_e64 v53, v56, v53, s[8:9]
	v_xor_b32_e32 v58, v58, v62
	v_alignbit_b32 v54, v51, v53, v60
	v_cndmask_b32_e64 v51, v54, v51, s[10:11]
	v_ffbh_u32_e32 v55, v58
	v_alignbit_b32 v54, v57, v51, 30
	v_min_u32_e32 v55, 32, v55
	v_alignbit_b32 v51, v51, v53, 30
	v_xor_b32_e32 v54, v54, v62
	v_sub_u32_e32 v56, 31, v55
	v_xor_b32_e32 v51, v51, v62
	v_alignbit_b32 v57, v58, v54, v56
	v_alignbit_b32 v51, v54, v51, v56
	;; [unrolled: 1-line block ×3, first 2 shown]
	v_ffbh_u32_e32 v54, v53
	v_min_u32_e32 v54, 32, v54
	v_lshrrev_b32_e32 v59, 29, v29
	v_not_b32_e32 v56, v54
	v_alignbit_b32 v51, v53, v51, v56
	v_lshlrev_b32_e32 v53, 31, v59
	v_or_b32_e32 v56, 0x33000000, v53
	v_add_lshl_u32 v54, v54, v55, 23
	v_lshrrev_b32_e32 v51, 9, v51
	v_sub_u32_e32 v54, v56, v54
	v_or_b32_e32 v53, 0.5, v53
	v_lshlrev_b32_e32 v55, 23, v55
	v_or_b32_e32 v51, v54, v51
	v_lshrrev_b32_e32 v54, 9, v57
	v_sub_u32_e32 v53, v53, v55
	v_or_b32_e32 v53, v54, v53
	v_mul_f32_e32 v54, 0x3fc90fda, v53
	v_fma_f32 v55, v53, s38, -v54
	v_fmac_f32_e32 v55, 0x33a22168, v53
	v_fmac_f32_e32 v55, 0x3fc90fda, v51
	v_lshrrev_b32_e32 v29, 30, v29
	v_add_f32_e32 v51, v54, v55
	v_add_u32_e32 v29, v61, v29
.LBB1_9:                                ;   in Loop: Header=BB1_7 Depth=1
	s_andn2_saveexec_b64 s[4:5], s[16:17]
	s_cbranch_execz .LBB1_6
; %bb.10:                               ;   in Loop: Header=BB1_7 Depth=1
	v_mul_f32_e64 v29, |v49|, s39
	v_rndne_f32_e32 v53, v29
	v_cvt_i32_f32_e32 v29, v53
	v_fma_f32 v51, v53, s40, |v49|
	v_fmac_f32_e32 v51, 0xb3a22168, v53
	v_fmac_f32_e32 v51, 0xa7c234c4, v53
	s_branch .LBB1_6
.LBB1_11:
	v_add_f32_e32 v28, -1.0, v28
	s_mov_b32 s4, 0x3e800000
	v_fma_f32 v28, v28, s4, 1.0
	v_mul_f32_e32 v29, 0x40490e56, v28
	s_brev_b32 s4, 18
	v_and_b32_e32 v37, 0x7fffffff, v29
	v_cmp_nlt_f32_e64 s[4:5], |v29|, s4
                                        ; implicit-def: $vgpr38
                                        ; implicit-def: $vgpr39
	s_and_saveexec_b64 s[6:7], s[4:5]
	s_xor_b64 s[16:17], exec, s[6:7]
	s_cbranch_execz .LBB1_13
; %bb.12:
	v_and_b32_e32 v28, 0x7fffff, v37
	v_or_b32_e32 v28, 0x800000, v28
	s_mov_b32 s4, 0xfe5163ab
	v_mad_u64_u32 v[35:36], s[4:5], v28, s4, 0
	v_mov_b32_e32 v39, 0
	s_mov_b32 s4, 0x3c439041
	v_mov_b32_e32 v38, v36
	v_mad_u64_u32 v[46:47], s[4:5], v28, s4, v[38:39]
	s_mov_b32 s4, 0xdb629599
	v_lshrrev_b32_e32 v30, 23, v37
	v_mov_b32_e32 v38, v47
	v_mad_u64_u32 v[47:48], s[4:5], v28, s4, v[38:39]
	s_mov_b32 s4, 0xf534ddc0
	v_add_u32_e32 v30, 0xffffff88, v30
	v_mov_b32_e32 v38, v48
	v_mad_u64_u32 v[48:49], s[4:5], v28, s4, v[38:39]
	s_mov_b32 s4, 0xfc2757d1
	v_not_b32_e32 v36, 63
	v_mov_b32_e32 v38, v49
	v_mad_u64_u32 v[49:50], s[4:5], v28, s4, v[38:39]
	v_cmp_lt_u32_e64 s[4:5], 63, v30
	s_mov_b32 s6, 0x4e441529
	v_mov_b32_e32 v38, v50
	v_cndmask_b32_e64 v36, 0, v36, s[4:5]
	v_mad_u64_u32 v[50:51], s[6:7], v28, s6, v[38:39]
	v_add_u32_e32 v30, v36, v30
	v_not_b32_e32 v36, 31
	v_cmp_lt_u32_e64 s[6:7], 31, v30
	v_cndmask_b32_e64 v38, 0, v36, s[6:7]
	v_add_u32_e32 v30, v38, v30
	v_mov_b32_e32 v38, v51
	s_mov_b32 s8, 0xa2f9836e
	v_mad_u64_u32 v[38:39], s[8:9], v28, s8, v[38:39]
	v_cmp_lt_u32_e64 s[8:9], 31, v30
	v_cndmask_b32_e64 v28, 0, v36, s[8:9]
	v_add_u32_e32 v28, v28, v30
	v_cndmask_b32_e64 v30, v50, v48, s[4:5]
	v_cndmask_b32_e64 v36, v38, v49, s[4:5]
	;; [unrolled: 1-line block ×9, first 2 shown]
	v_sub_u32_e32 v44, 32, v28
	v_alignbit_b32 v49, v36, v38, v44
	v_cmp_eq_u32_e64 s[10:11], 0, v28
	v_cndmask_b32_e64 v28, v49, v36, s[10:11]
	v_cndmask_b32_e64 v36, v48, v46, s[4:5]
	;; [unrolled: 1-line block ×5, first 2 shown]
	v_alignbit_b32 v46, v38, v30, v44
	v_cndmask_b32_e64 v35, v36, v35, s[6:7]
	v_cndmask_b32_e64 v38, v46, v38, s[10:11]
	v_bfe_u32 v49, v28, 29, 1
	v_cndmask_b32_e64 v35, v39, v35, s[8:9]
	v_alignbit_b32 v46, v28, v38, 30
	v_sub_u32_e32 v50, 0, v49
	v_alignbit_b32 v36, v30, v35, v44
	v_xor_b32_e32 v46, v46, v50
	v_cndmask_b32_e64 v30, v36, v30, s[10:11]
	v_alignbit_b32 v36, v38, v30, 30
	v_ffbh_u32_e32 v38, v46
	v_min_u32_e32 v38, 32, v38
	v_alignbit_b32 v30, v30, v35, 30
	v_xor_b32_e32 v36, v36, v50
	v_sub_u32_e32 v39, 31, v38
	v_xor_b32_e32 v30, v30, v50
	v_alignbit_b32 v44, v46, v36, v39
	v_alignbit_b32 v30, v36, v30, v39
	;; [unrolled: 1-line block ×3, first 2 shown]
	v_ffbh_u32_e32 v36, v35
	v_min_u32_e32 v36, 32, v36
	v_lshrrev_b32_e32 v48, 29, v28
	v_not_b32_e32 v39, v36
	v_alignbit_b32 v30, v35, v30, v39
	v_lshlrev_b32_e32 v35, 31, v48
	v_or_b32_e32 v39, 0x33000000, v35
	v_add_lshl_u32 v36, v36, v38, 23
	v_lshrrev_b32_e32 v30, 9, v30
	v_sub_u32_e32 v36, v39, v36
	v_or_b32_e32 v35, 0.5, v35
	v_lshlrev_b32_e32 v38, 23, v38
	v_or_b32_e32 v30, v36, v30
	v_lshrrev_b32_e32 v36, 9, v44
	v_sub_u32_e32 v35, v35, v38
	v_or_b32_e32 v35, v36, v35
	s_mov_b32 s4, 0x3fc90fda
	v_mul_f32_e32 v36, 0x3fc90fda, v35
	v_fma_f32 v38, v35, s4, -v36
	v_fmac_f32_e32 v38, 0x33a22168, v35
	v_fmac_f32_e32 v38, 0x3fc90fda, v30
	v_lshrrev_b32_e32 v28, 30, v28
	v_add_f32_e32 v39, v36, v38
	v_add_u32_e32 v38, v49, v28
.LBB1_13:
	s_andn2_saveexec_b64 s[4:5], s[16:17]
	s_cbranch_execz .LBB1_15
; %bb.14:
	s_mov_b32 s6, 0x3f22f983
	v_mul_f32_e64 v28, |v29|, s6
	v_rndne_f32_e32 v28, v28
	s_mov_b32 s6, 0xbfc90fda
	v_cvt_i32_f32_e32 v38, v28
	v_fma_f32 v39, v28, s6, |v29|
	v_fmac_f32_e32 v39, 0xb3a22168, v28
	v_fmac_f32_e32 v39, 0xa7c234c4, v28
.LBB1_15:
	s_or_b64 exec, exec, s[4:5]
	v_mul_f32_e32 v44, v39, v39
	v_mov_b32_e32 v35, 0x3c0881c4
	v_fmac_f32_e32 v35, 0xb94c1982, v44
	v_mov_b32_e32 v30, 0xbe2aaa9d
	v_fma_f32 v35, v44, v35, v30
	v_mul_f32_e32 v35, v44, v35
	v_mov_b32_e32 v36, 0xbab64f3b
	v_fmac_f32_e32 v39, v39, v35
	v_fmac_f32_e32 v36, 0x37d75334, v44
	v_mov_b32_e32 v35, 0x3d2aabf7
	v_add_f32_e32 v28, -1.0, v45
	v_fma_f32 v45, v44, v36, v35
	v_mov_b32_e32 v36, 0xbf000004
	v_fma_f32 v45, v44, v45, v36
	v_fma_f32 v44, v44, v45, 1.0
	v_and_b32_e32 v45, 1, v38
	v_lshlrev_b32_e32 v38, 30, v38
	v_cmp_eq_u32_e64 s[4:5], 0, v45
	v_and_b32_e32 v38, 0x80000000, v38
	v_xor_b32_e32 v37, v37, v29
	v_cndmask_b32_e64 v39, v44, v39, s[4:5]
	v_xor_b32_e32 v37, v37, v38
	s_movk_i32 s20, 0x1f8
	v_xor_b32_e32 v38, v37, v39
	v_mov_b32_e32 v37, 0x7fc00000
	v_cmp_class_f32_e64 s[4:5], v29, s20
	v_cndmask_b32_e64 v45, v37, v38, s[4:5]
	v_cmp_eq_f32_e64 s[4:5], 1.0, v45
	v_frexp_mant_f32_e64 v29, |v45|
	s_mov_b32 s21, 0x3f2aaaab
	v_cndmask_b32_e64 v46, 2.0, 1.0, s[4:5]
	v_cmp_gt_f32_e64 s[4:5], s21, v29
	v_cndmask_b32_e64 v38, 1.0, 2.0, s[4:5]
	v_mul_f32_e32 v29, v29, v38
	v_add_f32_e32 v38, 1.0, v29
	v_rcp_f32_e32 v39, v38
	v_add_f32_e32 v44, -1.0, v29
	v_add_f32_e32 v47, -1.0, v38
	v_sub_f32_e32 v29, v29, v47
	v_mul_f32_e32 v47, v44, v39
	v_mul_f32_e32 v48, v38, v47
	v_fma_f32 v38, v47, v38, -v48
	v_fmac_f32_e32 v38, v47, v29
	v_add_f32_e32 v29, v48, v38
	v_sub_f32_e32 v49, v44, v29
	v_sub_f32_e32 v48, v29, v48
	;; [unrolled: 1-line block ×5, first 2 shown]
	v_add_f32_e32 v29, v38, v29
	v_add_f32_e32 v29, v49, v29
	v_mul_f32_e32 v29, v39, v29
	v_add_f32_e32 v39, v47, v29
	v_sub_f32_e32 v38, v39, v47
	v_sub_f32_e32 v44, v29, v38
	v_mul_f32_e32 v47, v39, v39
	v_fma_f32 v48, v39, v39, -v47
	v_add_f32_e32 v29, v44, v44
	v_fmac_f32_e32 v48, v39, v29
	v_add_f32_e32 v49, v47, v48
	v_sub_f32_e32 v47, v49, v47
	v_sub_f32_e32 v47, v48, v47
	v_mul_f32_e32 v48, v39, v49
	v_fma_f32 v51, v49, v39, -v48
	v_fmac_f32_e32 v51, v49, v44
	v_mov_b32_e32 v50, 0x3e91f4c4
	v_fmac_f32_e32 v51, v47, v39
	v_fmac_f32_e32 v50, 0x3e76c4e1, v49
	v_mov_b32_e32 v38, 0x3ecccdef
	v_add_f32_e32 v52, v48, v51
	v_fma_f32 v50, v49, v50, v38
	v_sub_f32_e32 v48, v52, v48
	v_sub_f32_e32 v51, v51, v48
	v_mul_f32_e32 v48, v49, v50
	v_fma_f32 v49, v49, v50, -v48
	v_fmac_f32_e32 v49, v47, v50
	v_add_f32_e32 v50, v48, v49
	v_sub_f32_e32 v47, v50, v48
	v_sub_f32_e32 v49, v49, v47
	v_cvt_f64_f32_e64 v[47:48], |v45|
	v_add_f32_e32 v53, 0x3f2aaaaa, v50
	v_add_f32_e32 v54, 0xbf2aaaaa, v53
	;; [unrolled: 1-line block ×3, first 2 shown]
	v_frexp_exp_i32_f64_e32 v47, v[47:48]
	v_sub_f32_e32 v50, v50, v54
	v_add_f32_e32 v48, v49, v50
	v_add_f32_e32 v49, v53, v48
	v_sub_f32_e32 v50, v53, v49
	v_add_f32_e32 v48, v48, v50
	v_mul_f32_e32 v50, v52, v49
	v_fma_f32 v53, v52, v49, -v50
	v_subbrev_co_u32_e64 v47, s[4:5], 0, v47, s[4:5]
	v_cvt_f32_i32_e32 v47, v47
	v_fmac_f32_e32 v53, v52, v48
	s_mov_b32 s22, 0x3f317218
	v_fmac_f32_e32 v53, v51, v49
	v_mul_f32_e32 v48, 0x3f317218, v47
	v_fma_f32 v49, v47, s22, -v48
	v_fmac_f32_e32 v49, 0xb102e308, v47
	v_add_f32_e32 v47, v48, v49
	v_sub_f32_e32 v48, v47, v48
	v_ldexp_f32 v39, v39, 1
	v_sub_f32_e32 v48, v49, v48
	v_add_f32_e32 v49, v50, v53
	v_sub_f32_e32 v50, v49, v50
	v_add_f32_e32 v51, v39, v49
	v_ldexp_f32 v44, v44, 1
	v_sub_f32_e32 v50, v53, v50
	v_sub_f32_e32 v39, v51, v39
	;; [unrolled: 1-line block ×3, first 2 shown]
	v_add_f32_e32 v44, v44, v50
	v_add_f32_e32 v39, v44, v39
	;; [unrolled: 1-line block ×3, first 2 shown]
	v_sub_f32_e32 v49, v44, v51
	v_sub_f32_e32 v39, v39, v49
	v_add_f32_e32 v49, v47, v44
	v_sub_f32_e32 v50, v49, v47
	v_sub_f32_e32 v51, v49, v50
	;; [unrolled: 1-line block ×4, first 2 shown]
	v_add_f32_e32 v44, v44, v47
	v_add_f32_e32 v47, v48, v39
	v_sub_f32_e32 v50, v47, v48
	v_sub_f32_e32 v51, v47, v50
	v_add_f32_e32 v44, v47, v44
	v_sub_f32_e32 v48, v48, v51
	v_sub_f32_e32 v39, v39, v50
	v_add_f32_e32 v47, v49, v44
	v_add_f32_e32 v39, v39, v48
	v_sub_f32_e32 v48, v47, v49
	v_sub_f32_e32 v44, v44, v48
	v_add_f32_e32 v39, v39, v44
	v_add_f32_e32 v44, v47, v39
	v_sub_f32_e32 v47, v44, v47
	v_sub_f32_e32 v39, v39, v47
	v_mul_f32_e32 v47, v46, v44
	v_fma_f32 v44, v46, v44, -v47
	v_fmac_f32_e32 v44, v46, v39
	s_movk_i32 s23, 0x204
	v_add_f32_e32 v39, v47, v44
	v_cmp_class_f32_e64 s[4:5], v47, s23
	v_sub_f32_e32 v48, v39, v47
	v_cndmask_b32_e64 v47, v39, v47, s[4:5]
	s_mov_b32 s25, 0x42b17218
	v_mov_b32_e32 v39, 0x37000000
	v_cmp_eq_f32_e64 s[4:5], s25, v47
	v_sub_f32_e32 v44, v44, v48
	v_cndmask_b32_e64 v48, 0, v39, s[4:5]
	v_sub_f32_e32 v49, v47, v48
	s_mov_b32 s26, 0x3fb8aa3b
	v_mul_f32_e32 v50, 0x3fb8aa3b, v49
	v_fma_f32 v51, v49, s26, -v50
	v_rndne_f32_e32 v52, v50
	v_fmac_f32_e32 v51, 0x32a5705f, v49
	v_sub_f32_e32 v50, v50, v52
	v_add_f32_e32 v50, v50, v51
	v_exp_f32_e32 v50, v50
	v_cvt_i32_f32_e32 v51, v52
	s_mov_b32 s24, 0x7f800000
	v_cmp_neq_f32_e64 s[4:5], |v47|, s24
	v_cndmask_b32_e64 v44, 0, v44, s[4:5]
	s_mov_b32 s27, 0xc2ce8ed0
	v_add_f32_e32 v47, v48, v44
	v_ldexp_f32 v44, v50, v51
	v_cmp_ngt_f32_e64 s[4:5], s27, v49
	v_cndmask_b32_e64 v48, 0, v44, s[4:5]
	v_mov_b32_e32 v44, 0x7f800000
	v_cmp_nlt_f32_e64 s[4:5], s25, v49
	v_cndmask_b32_e64 v48, v44, v48, s[4:5]
	v_fma_f32 v47, v48, v47, v48
	v_cmp_class_f32_e64 s[4:5], v48, s23
	v_cndmask_b32_e64 v47, v47, v48, s[4:5]
	v_trunc_f32_e32 v48, v46
	v_cmp_eq_f32_e64 s[4:5], v48, v46
	v_mul_f32_e32 v46, 0.5, v46
	v_trunc_f32_e32 v48, v46
	v_cmp_neq_f32_e64 s[6:7], v48, v46
	s_and_b64 s[6:7], s[4:5], s[6:7]
	v_cndmask_b32_e64 v46, 1.0, v45, s[6:7]
	s_brev_b32 s28, -2
	v_bfi_b32 v46, s28, v47, v46
	v_cndmask_b32_e64 v47, v37, v46, s[4:5]
	v_cmp_gt_f32_e64 s[4:5], 0, v45
	v_cndmask_b32_e64 v46, v46, v47, s[4:5]
	v_cmp_eq_f32_e64 s[4:5], 0, v45
	s_mov_b32 s18, 0x3e800000
	v_cmp_class_f32_e64 s[8:9], v45, s23
	v_cndmask_b32_e64 v47, v44, 0, s[4:5]
	v_cndmask_b32_e64 v48, 0, v45, s[6:7]
	v_fma_f32 v28, v28, s18, 1.0
	v_bfi_b32 v47, s28, v47, v48
	s_or_b64 s[4:5], s[4:5], s[8:9]
	v_cndmask_b32_e64 v46, v46, v47, s[4:5]
	v_cmp_o_f32_e64 s[4:5], v45, v45
	v_add_f32_e32 v28, -1.0, v28
	v_cndmask_b32_e64 v45, v37, v46, s[4:5]
	v_cmp_eq_f32_e64 s[4:5], 1.0, v28
	v_frexp_mant_f32_e64 v47, |v28|
	v_cndmask_b32_e64 v46, 2.0, 1.0, s[4:5]
	v_cmp_gt_f32_e64 s[4:5], s21, v47
	v_cndmask_b32_e64 v48, 1.0, 2.0, s[4:5]
	v_mul_f32_e32 v47, v47, v48
	v_add_f32_e32 v48, 1.0, v47
	v_rcp_f32_e32 v49, v48
	v_add_f32_e32 v50, -1.0, v47
	v_add_f32_e32 v51, -1.0, v48
	v_sub_f32_e32 v47, v47, v51
	v_mul_f32_e32 v51, v50, v49
	v_mul_f32_e32 v52, v48, v51
	v_fma_f32 v48, v51, v48, -v52
	v_fmac_f32_e32 v48, v51, v47
	v_add_f32_e32 v47, v52, v48
	v_sub_f32_e32 v53, v50, v47
	v_sub_f32_e32 v52, v47, v52
	;; [unrolled: 1-line block ×5, first 2 shown]
	v_add_f32_e32 v47, v48, v47
	v_add_f32_e32 v47, v53, v47
	v_mul_f32_e32 v47, v49, v47
	v_add_f32_e32 v49, v51, v47
	v_sub_f32_e32 v48, v49, v51
	v_sub_f32_e32 v50, v47, v48
	v_mul_f32_e32 v47, v49, v49
	v_fma_f32 v48, v49, v49, -v47
	v_add_f32_e32 v51, v50, v50
	v_fmac_f32_e32 v48, v49, v51
	v_add_f32_e32 v51, v47, v48
	v_sub_f32_e32 v47, v51, v47
	v_sub_f32_e32 v47, v48, v47
	v_mul_f32_e32 v48, v49, v51
	v_fma_f32 v52, v51, v49, -v48
	v_fmac_f32_e32 v52, v51, v50
	v_mov_b32_e32 v29, 0x3e91f4c4
	v_fmac_f32_e32 v52, v47, v49
	v_fmac_f32_e32 v29, 0x3e76c4e1, v51
	v_add_f32_e32 v53, v48, v52
	v_fma_f32 v29, v51, v29, v38
	v_sub_f32_e32 v48, v53, v48
	v_sub_f32_e32 v52, v52, v48
	v_mul_f32_e32 v48, v51, v29
	v_fma_f32 v51, v51, v29, -v48
	v_fmac_f32_e32 v51, v47, v29
	v_add_f32_e32 v29, v48, v51
	v_sub_f32_e32 v55, v29, v48
	v_cvt_f64_f32_e64 v[47:48], |v28|
	v_add_f32_e32 v54, 0x3f2aaaaa, v29
	v_sub_f32_e32 v51, v51, v55
	v_add_f32_e32 v55, 0xbf2aaaaa, v54
	v_frexp_exp_i32_f64_e32 v47, v[47:48]
	v_add_f32_e32 v51, 0x31739010, v51
	v_sub_f32_e32 v29, v29, v55
	v_add_f32_e32 v29, v51, v29
	v_add_f32_e32 v48, v54, v29
	v_sub_f32_e32 v51, v54, v48
	v_add_f32_e32 v29, v29, v51
	v_mul_f32_e32 v51, v53, v48
	v_subbrev_co_u32_e64 v47, s[4:5], 0, v47, s[4:5]
	v_cvt_f32_i32_e32 v47, v47
	v_fma_f32 v54, v53, v48, -v51
	v_fmac_f32_e32 v54, v53, v29
	v_fmac_f32_e32 v54, v52, v48
	v_mul_f32_e32 v29, 0x3f317218, v47
	v_fma_f32 v48, v47, s22, -v29
	v_fmac_f32_e32 v48, 0xb102e308, v47
	v_ldexp_f32 v47, v50, 1
	v_add_f32_e32 v50, v29, v48
	v_sub_f32_e32 v29, v50, v29
	v_ldexp_f32 v49, v49, 1
	v_sub_f32_e32 v29, v48, v29
	v_add_f32_e32 v48, v51, v54
	v_sub_f32_e32 v51, v48, v51
	v_add_f32_e32 v52, v49, v48
	v_sub_f32_e32 v51, v54, v51
	v_sub_f32_e32 v49, v52, v49
	v_sub_f32_e32 v48, v48, v49
	v_add_f32_e32 v47, v47, v51
	v_add_f32_e32 v47, v47, v48
	;; [unrolled: 1-line block ×3, first 2 shown]
	v_sub_f32_e32 v49, v48, v52
	v_sub_f32_e32 v47, v47, v49
	v_add_f32_e32 v49, v50, v48
	v_sub_f32_e32 v51, v49, v50
	v_sub_f32_e32 v52, v49, v51
	;; [unrolled: 1-line block ×4, first 2 shown]
	v_add_f32_e32 v48, v48, v50
	v_add_f32_e32 v50, v29, v47
	v_sub_f32_e32 v51, v50, v29
	v_sub_f32_e32 v52, v50, v51
	;; [unrolled: 1-line block ×4, first 2 shown]
	v_add_f32_e32 v29, v47, v29
	v_add_f32_e32 v47, v50, v48
	;; [unrolled: 1-line block ×3, first 2 shown]
	v_sub_f32_e32 v49, v48, v49
	v_sub_f32_e32 v47, v47, v49
	v_add_f32_e32 v29, v29, v47
	v_add_f32_e32 v47, v48, v29
	v_sub_f32_e32 v48, v47, v48
	v_sub_f32_e32 v29, v29, v48
	v_mul_f32_e32 v48, v46, v47
	v_fma_f32 v47, v46, v47, -v48
	v_fmac_f32_e32 v47, v46, v29
	v_add_f32_e32 v29, v48, v47
	v_cmp_class_f32_e64 s[4:5], v48, s23
	v_sub_f32_e32 v49, v29, v48
	v_cndmask_b32_e64 v29, v29, v48, s[4:5]
	v_cmp_eq_f32_e64 s[4:5], s25, v29
	v_cndmask_b32_e64 v48, 0, v39, s[4:5]
	v_sub_f32_e32 v47, v47, v49
	v_sub_f32_e32 v49, v29, v48
	v_mul_f32_e32 v50, 0x3fb8aa3b, v49
	v_fma_f32 v51, v49, s26, -v50
	v_rndne_f32_e32 v52, v50
	v_fmac_f32_e32 v51, 0x32a5705f, v49
	v_sub_f32_e32 v50, v50, v52
	v_add_f32_e32 v50, v50, v51
	v_exp_f32_e32 v50, v50
	v_cvt_i32_f32_e32 v51, v52
	v_cmp_neq_f32_e64 s[4:5], |v29|, s24
	v_cndmask_b32_e64 v29, 0, v47, s[4:5]
	v_cmp_ngt_f32_e64 s[4:5], s27, v49
	v_ldexp_f32 v47, v50, v51
	v_cndmask_b32_e64 v47, 0, v47, s[4:5]
	v_cmp_nlt_f32_e64 s[4:5], s25, v49
	v_add_f32_e32 v29, v48, v29
	v_cndmask_b32_e64 v47, v44, v47, s[4:5]
	v_fma_f32 v29, v47, v29, v47
	v_cmp_class_f32_e64 s[4:5], v47, s23
	v_cndmask_b32_e64 v29, v29, v47, s[4:5]
	v_trunc_f32_e32 v47, v46
	v_cmp_eq_f32_e64 s[4:5], v47, v46
	v_mul_f32_e32 v46, 0.5, v46
	v_trunc_f32_e32 v47, v46
	v_cmp_neq_f32_e64 s[6:7], v47, v46
	s_and_b64 s[6:7], s[4:5], s[6:7]
	v_cndmask_b32_e64 v46, 1.0, v28, s[6:7]
	v_bfi_b32 v29, s28, v29, v46
	v_cndmask_b32_e64 v46, v37, v29, s[4:5]
	v_cmp_gt_f32_e64 s[4:5], 0, v28
	v_cndmask_b32_e64 v29, v29, v46, s[4:5]
	v_cmp_eq_f32_e64 s[4:5], 0, v28
	v_cmp_class_f32_e64 s[8:9], v28, s23
	v_cndmask_b32_e64 v46, v44, 0, s[4:5]
	v_cndmask_b32_e64 v47, 0, v28, s[6:7]
	v_bfi_b32 v46, s28, v46, v47
	s_or_b64 s[4:5], s[4:5], s[8:9]
	v_cndmask_b32_e64 v29, v29, v46, s[4:5]
	v_cmp_o_f32_e64 s[4:5], v28, v28
	v_cndmask_b32_e64 v28, v37, v29, s[4:5]
	s_mov_b32 s19, 0
	v_add_f32_e32 v45, v28, v45
	s_brev_b32 s29, 18
	s_mov_b32 s30, 0xfe5163ab
	v_mov_b32_e32 v29, 0
	s_mov_b32 s31, 0x3c439041
	s_mov_b32 s33, 0xdb629599
	;; [unrolled: 1-line block ×10, first 2 shown]
	v_not_b32_e32 v46, 63
	v_not_b32_e32 v47, 31
	s_branch .LBB1_17
.LBB1_16:                               ;   in Loop: Header=BB1_17 Depth=1
	s_or_b64 exec, exec, s[4:5]
	s_waitcnt vmcnt(0)
	v_add_f32_e32 v51, -1.0, v51
	v_fma_f32 v51, v51, s18, 1.0
	v_add_f32_e32 v51, -1.0, v51
	v_cmp_eq_f32_e64 s[4:5], 1.0, v51
	v_frexp_mant_f32_e64 v53, |v51|
	v_cndmask_b32_e64 v52, 2.0, 1.0, s[4:5]
	v_cmp_gt_f32_e64 s[4:5], s21, v53
	v_cndmask_b32_e64 v54, 1.0, 2.0, s[4:5]
	v_mul_f32_e32 v53, v53, v54
	v_add_f32_e32 v54, 1.0, v53
	v_rcp_f32_e32 v55, v54
	v_add_f32_e32 v56, -1.0, v53
	v_add_f32_e32 v57, -1.0, v54
	v_sub_f32_e32 v53, v53, v57
	v_mul_f32_e32 v57, v56, v55
	v_mul_f32_e32 v58, v54, v57
	v_fma_f32 v54, v57, v54, -v58
	v_fmac_f32_e32 v54, v57, v53
	v_add_f32_e32 v53, v58, v54
	v_sub_f32_e32 v59, v56, v53
	v_sub_f32_e32 v58, v53, v58
	;; [unrolled: 1-line block ×5, first 2 shown]
	v_add_f32_e32 v53, v54, v53
	v_add_f32_e32 v53, v59, v53
	v_mul_f32_e32 v53, v55, v53
	v_add_f32_e32 v55, v57, v53
	v_sub_f32_e32 v54, v55, v57
	v_sub_f32_e32 v56, v53, v54
	v_mul_f32_e32 v53, v55, v55
	v_fma_f32 v54, v55, v55, -v53
	v_add_f32_e32 v57, v56, v56
	v_fmac_f32_e32 v54, v55, v57
	v_add_f32_e32 v57, v53, v54
	v_sub_f32_e32 v53, v57, v53
	v_sub_f32_e32 v53, v54, v53
	v_mul_f32_e32 v54, v55, v57
	v_fma_f32 v59, v57, v55, -v54
	v_fmac_f32_e32 v59, v57, v56
	v_mov_b32_e32 v58, 0x3e91f4c4
	v_fmac_f32_e32 v59, v53, v55
	v_fmac_f32_e32 v58, 0x3e76c4e1, v57
	v_add_f32_e32 v60, v54, v59
	v_fma_f32 v58, v57, v58, v38
	v_sub_f32_e32 v54, v60, v54
	v_sub_f32_e32 v59, v59, v54
	v_mul_f32_e32 v54, v57, v58
	v_fma_f32 v57, v57, v58, -v54
	v_fmac_f32_e32 v57, v53, v58
	v_add_f32_e32 v58, v54, v57
	v_sub_f32_e32 v62, v58, v54
	v_cvt_f64_f32_e64 v[53:54], |v51|
	v_add_f32_e32 v61, 0x3f2aaaaa, v58
	v_sub_f32_e32 v57, v57, v62
	v_add_f32_e32 v62, 0xbf2aaaaa, v61
	v_frexp_exp_i32_f64_e32 v53, v[53:54]
	v_add_f32_e32 v57, 0x31739010, v57
	v_sub_f32_e32 v54, v58, v62
	v_add_f32_e32 v54, v57, v54
	v_add_f32_e32 v57, v61, v54
	v_sub_f32_e32 v58, v61, v57
	v_add_f32_e32 v54, v54, v58
	v_mul_f32_e32 v58, v60, v57
	v_subbrev_co_u32_e64 v53, s[4:5], 0, v53, s[4:5]
	v_cvt_f32_i32_e32 v53, v53
	v_fma_f32 v61, v60, v57, -v58
	v_fmac_f32_e32 v61, v60, v54
	v_fmac_f32_e32 v61, v59, v57
	v_mul_f32_e32 v54, 0x3f317218, v53
	v_fma_f32 v57, v53, s22, -v54
	v_fmac_f32_e32 v57, 0xb102e308, v53
	v_ldexp_f32 v53, v56, 1
	v_add_f32_e32 v56, v54, v57
	v_sub_f32_e32 v54, v56, v54
	v_ldexp_f32 v55, v55, 1
	v_sub_f32_e32 v54, v57, v54
	v_add_f32_e32 v57, v58, v61
	v_sub_f32_e32 v58, v57, v58
	v_add_f32_e32 v59, v55, v57
	v_sub_f32_e32 v58, v61, v58
	v_sub_f32_e32 v55, v59, v55
	;; [unrolled: 1-line block ×3, first 2 shown]
	v_add_f32_e32 v53, v53, v58
	v_add_f32_e32 v53, v53, v55
	;; [unrolled: 1-line block ×3, first 2 shown]
	v_sub_f32_e32 v57, v55, v59
	v_sub_f32_e32 v53, v53, v57
	v_add_f32_e32 v57, v56, v55
	v_sub_f32_e32 v58, v57, v56
	v_sub_f32_e32 v59, v57, v58
	;; [unrolled: 1-line block ×4, first 2 shown]
	v_add_f32_e32 v55, v55, v56
	v_add_f32_e32 v56, v54, v53
	v_sub_f32_e32 v58, v56, v54
	v_sub_f32_e32 v59, v56, v58
	;; [unrolled: 1-line block ×4, first 2 shown]
	v_add_f32_e32 v53, v53, v54
	v_add_f32_e32 v54, v56, v55
	;; [unrolled: 1-line block ×3, first 2 shown]
	v_sub_f32_e32 v56, v55, v57
	v_sub_f32_e32 v54, v54, v56
	v_add_f32_e32 v53, v53, v54
	v_add_f32_e32 v54, v55, v53
	v_sub_f32_e32 v55, v54, v55
	v_sub_f32_e32 v53, v53, v55
	v_mul_f32_e32 v55, v52, v54
	v_fma_f32 v54, v52, v54, -v55
	v_fmac_f32_e32 v54, v52, v53
	v_add_f32_e32 v53, v55, v54
	v_cmp_class_f32_e64 s[4:5], v55, s23
	v_sub_f32_e32 v56, v53, v55
	v_cndmask_b32_e64 v53, v53, v55, s[4:5]
	v_cmp_eq_f32_e64 s[4:5], s25, v53
	v_cndmask_b32_e64 v55, 0, v39, s[4:5]
	v_sub_f32_e32 v54, v54, v56
	v_sub_f32_e32 v56, v53, v55
	v_mul_f32_e32 v57, 0x3fb8aa3b, v56
	v_fma_f32 v58, v56, s26, -v57
	v_rndne_f32_e32 v59, v57
	v_fmac_f32_e32 v58, 0x32a5705f, v56
	v_sub_f32_e32 v57, v57, v59
	v_add_f32_e32 v57, v57, v58
	v_exp_f32_e32 v57, v57
	v_cvt_i32_f32_e32 v58, v59
	v_cmp_neq_f32_e64 s[4:5], |v53|, s24
	v_cndmask_b32_e64 v53, 0, v54, s[4:5]
	v_cmp_ngt_f32_e64 s[4:5], s27, v56
	v_ldexp_f32 v54, v57, v58
	v_cndmask_b32_e64 v54, 0, v54, s[4:5]
	v_cmp_nlt_f32_e64 s[4:5], s25, v56
	v_add_f32_e32 v53, v55, v53
	v_cndmask_b32_e64 v54, v44, v54, s[4:5]
	v_fma_f32 v53, v54, v53, v54
	v_cmp_class_f32_e64 s[4:5], v54, s23
	v_cndmask_b32_e64 v53, v53, v54, s[4:5]
	v_trunc_f32_e32 v54, v52
	v_cmp_eq_f32_e64 s[4:5], v54, v52
	v_mul_f32_e32 v52, 0.5, v52
	v_trunc_f32_e32 v54, v52
	v_cmp_neq_f32_e64 s[6:7], v54, v52
	s_and_b64 s[6:7], s[4:5], s[6:7]
	v_cndmask_b32_e64 v52, 1.0, v51, s[6:7]
	v_bfi_b32 v52, s28, v53, v52
	v_cndmask_b32_e64 v53, v37, v52, s[4:5]
	v_cmp_gt_f32_e64 s[4:5], 0, v51
	v_cndmask_b32_e64 v52, v52, v53, s[4:5]
	v_cmp_eq_f32_e64 s[4:5], 0, v51
	v_cmp_class_f32_e64 s[8:9], v51, s23
	v_cndmask_b32_e64 v53, v44, 0, s[4:5]
	v_cndmask_b32_e64 v54, 0, v51, s[6:7]
	v_bfi_b32 v53, s28, v53, v54
	s_or_b64 s[4:5], s[4:5], s[8:9]
	v_cndmask_b32_e64 v52, v52, v53, s[4:5]
	v_cmp_o_f32_e64 s[4:5], v51, v51
	v_cndmask_b32_e64 v51, v37, v52, s[4:5]
	v_mul_f32_e32 v52, v50, v50
	v_mov_b32_e32 v53, 0x3c0881c4
	v_fmac_f32_e32 v53, 0xb94c1982, v52
	v_fma_f32 v53, v52, v53, v30
	v_mul_f32_e32 v53, v52, v53
	v_fmac_f32_e32 v50, v50, v53
	v_mov_b32_e32 v53, 0xbab64f3b
	v_fmac_f32_e32 v53, 0x37d75334, v52
	v_fma_f32 v53, v52, v53, v35
	v_fma_f32 v53, v52, v53, v36
	v_fma_f32 v52, v52, v53, 1.0
	v_and_b32_e32 v53, 1, v28
	v_lshlrev_b32_e32 v28, 30, v28
	v_cmp_eq_u32_e64 s[4:5], 0, v53
	v_and_b32_e32 v28, 0x80000000, v28
	v_xor_b32_e32 v49, v49, v48
	v_cndmask_b32_e64 v50, v52, v50, s[4:5]
	v_xor_b32_e32 v28, v49, v28
	v_xor_b32_e32 v28, v28, v50
	v_cmp_class_f32_e64 s[4:5], v48, s20
	v_cndmask_b32_e64 v28, v37, v28, s[4:5]
	v_cmp_eq_f32_e64 s[4:5], 1.0, v28
	v_frexp_mant_f32_e64 v49, |v28|
	v_cndmask_b32_e64 v48, 2.0, 1.0, s[4:5]
	v_cmp_gt_f32_e64 s[4:5], s21, v49
	v_cndmask_b32_e64 v50, 1.0, 2.0, s[4:5]
	v_mul_f32_e32 v49, v49, v50
	v_add_f32_e32 v50, 1.0, v49
	v_rcp_f32_e32 v52, v50
	v_add_f32_e32 v53, -1.0, v49
	v_add_f32_e32 v54, -1.0, v50
	v_sub_f32_e32 v49, v49, v54
	v_mul_f32_e32 v54, v53, v52
	v_mul_f32_e32 v55, v50, v54
	v_fma_f32 v50, v54, v50, -v55
	v_fmac_f32_e32 v50, v54, v49
	v_add_f32_e32 v49, v55, v50
	v_sub_f32_e32 v56, v53, v49
	v_sub_f32_e32 v55, v49, v55
	;; [unrolled: 1-line block ×5, first 2 shown]
	v_add_f32_e32 v49, v50, v49
	v_add_f32_e32 v49, v56, v49
	v_mul_f32_e32 v49, v52, v49
	v_add_f32_e32 v52, v54, v49
	v_sub_f32_e32 v50, v52, v54
	v_sub_f32_e32 v53, v49, v50
	v_mul_f32_e32 v49, v52, v52
	v_fma_f32 v50, v52, v52, -v49
	v_add_f32_e32 v54, v53, v53
	v_fmac_f32_e32 v50, v52, v54
	v_add_f32_e32 v54, v49, v50
	v_sub_f32_e32 v49, v54, v49
	v_sub_f32_e32 v49, v50, v49
	v_mul_f32_e32 v50, v52, v54
	v_fma_f32 v56, v54, v52, -v50
	v_fmac_f32_e32 v56, v54, v53
	v_mov_b32_e32 v55, 0x3e91f4c4
	v_fmac_f32_e32 v56, v49, v52
	v_fmac_f32_e32 v55, 0x3e76c4e1, v54
	v_add_f32_e32 v57, v50, v56
	v_fma_f32 v55, v54, v55, v38
	v_sub_f32_e32 v50, v57, v50
	v_sub_f32_e32 v56, v56, v50
	v_mul_f32_e32 v50, v54, v55
	v_fma_f32 v54, v54, v55, -v50
	v_fmac_f32_e32 v54, v49, v55
	v_add_f32_e32 v55, v50, v54
	v_sub_f32_e32 v59, v55, v50
	v_cvt_f64_f32_e64 v[49:50], |v28|
	v_add_f32_e32 v58, 0x3f2aaaaa, v55
	v_sub_f32_e32 v54, v54, v59
	v_add_f32_e32 v59, 0xbf2aaaaa, v58
	v_frexp_exp_i32_f64_e32 v49, v[49:50]
	v_add_f32_e32 v54, 0x31739010, v54
	v_sub_f32_e32 v50, v55, v59
	v_add_f32_e32 v50, v54, v50
	v_add_f32_e32 v54, v58, v50
	v_sub_f32_e32 v55, v58, v54
	v_add_f32_e32 v50, v50, v55
	v_mul_f32_e32 v55, v57, v54
	v_subbrev_co_u32_e64 v49, s[4:5], 0, v49, s[4:5]
	v_cvt_f32_i32_e32 v49, v49
	v_fma_f32 v58, v57, v54, -v55
	v_fmac_f32_e32 v58, v57, v50
	v_fmac_f32_e32 v58, v56, v54
	v_mul_f32_e32 v50, 0x3f317218, v49
	v_fma_f32 v54, v49, s22, -v50
	v_fmac_f32_e32 v54, 0xb102e308, v49
	v_ldexp_f32 v49, v53, 1
	v_add_f32_e32 v53, v50, v54
	v_sub_f32_e32 v50, v53, v50
	v_ldexp_f32 v52, v52, 1
	v_sub_f32_e32 v50, v54, v50
	v_add_f32_e32 v54, v55, v58
	v_sub_f32_e32 v55, v54, v55
	v_add_f32_e32 v56, v52, v54
	v_sub_f32_e32 v55, v58, v55
	v_sub_f32_e32 v52, v56, v52
	v_sub_f32_e32 v52, v54, v52
	v_add_f32_e32 v49, v49, v55
	v_add_f32_e32 v49, v49, v52
	;; [unrolled: 1-line block ×3, first 2 shown]
	v_sub_f32_e32 v54, v52, v56
	v_sub_f32_e32 v49, v49, v54
	v_add_f32_e32 v54, v53, v52
	v_sub_f32_e32 v55, v54, v53
	v_sub_f32_e32 v56, v54, v55
	;; [unrolled: 1-line block ×4, first 2 shown]
	v_add_f32_e32 v52, v52, v53
	v_add_f32_e32 v53, v50, v49
	v_sub_f32_e32 v55, v53, v50
	v_sub_f32_e32 v56, v53, v55
	;; [unrolled: 1-line block ×4, first 2 shown]
	v_add_f32_e32 v49, v49, v50
	v_add_f32_e32 v50, v53, v52
	;; [unrolled: 1-line block ×3, first 2 shown]
	v_sub_f32_e32 v53, v52, v54
	v_sub_f32_e32 v50, v50, v53
	v_add_f32_e32 v49, v49, v50
	v_add_f32_e32 v50, v52, v49
	v_sub_f32_e32 v52, v50, v52
	v_sub_f32_e32 v49, v49, v52
	v_mul_f32_e32 v52, v48, v50
	v_fma_f32 v50, v48, v50, -v52
	v_fmac_f32_e32 v50, v48, v49
	v_add_f32_e32 v49, v52, v50
	v_cmp_class_f32_e64 s[4:5], v52, s23
	v_sub_f32_e32 v53, v49, v52
	v_cndmask_b32_e64 v49, v49, v52, s[4:5]
	v_cmp_eq_f32_e64 s[4:5], s25, v49
	v_cndmask_b32_e64 v52, 0, v39, s[4:5]
	v_sub_f32_e32 v50, v50, v53
	v_sub_f32_e32 v53, v49, v52
	v_mul_f32_e32 v54, 0x3fb8aa3b, v53
	v_fma_f32 v55, v53, s26, -v54
	v_rndne_f32_e32 v56, v54
	v_fmac_f32_e32 v55, 0x32a5705f, v53
	v_sub_f32_e32 v54, v54, v56
	v_add_f32_e32 v54, v54, v55
	v_exp_f32_e32 v54, v54
	v_cvt_i32_f32_e32 v55, v56
	v_cmp_neq_f32_e64 s[4:5], |v49|, s24
	v_cndmask_b32_e64 v49, 0, v50, s[4:5]
	v_cmp_ngt_f32_e64 s[4:5], s27, v53
	v_ldexp_f32 v50, v54, v55
	v_cndmask_b32_e64 v50, 0, v50, s[4:5]
	v_cmp_nlt_f32_e64 s[4:5], s25, v53
	v_add_f32_e32 v49, v52, v49
	v_cndmask_b32_e64 v50, v44, v50, s[4:5]
	v_fma_f32 v49, v50, v49, v50
	v_cmp_class_f32_e64 s[4:5], v50, s23
	v_cndmask_b32_e64 v49, v49, v50, s[4:5]
	v_trunc_f32_e32 v50, v48
	v_cmp_eq_f32_e64 s[4:5], v50, v48
	v_mul_f32_e32 v48, 0.5, v48
	v_trunc_f32_e32 v50, v48
	v_cmp_neq_f32_e64 s[6:7], v50, v48
	s_and_b64 s[6:7], s[4:5], s[6:7]
	v_cndmask_b32_e64 v48, 1.0, v28, s[6:7]
	v_bfi_b32 v48, s28, v49, v48
	v_cndmask_b32_e64 v49, v37, v48, s[4:5]
	v_cmp_gt_f32_e64 s[4:5], 0, v28
	v_cndmask_b32_e64 v48, v48, v49, s[4:5]
	v_cmp_eq_f32_e64 s[4:5], 0, v28
	v_cmp_class_f32_e64 s[8:9], v28, s23
	v_cndmask_b32_e64 v49, v44, 0, s[4:5]
	v_cndmask_b32_e64 v50, 0, v28, s[6:7]
	v_bfi_b32 v49, s28, v49, v50
	s_or_b64 s[4:5], s[4:5], s[8:9]
	v_cndmask_b32_e64 v48, v48, v49, s[4:5]
	v_fma_f32 v48, v48, s41, 1.0
	v_cmp_o_f32_e64 s[4:5], v28, v28
	v_cndmask_b32_e64 v28, v37, v48, s[4:5]
	s_add_i32 s19, s19, 4
	s_cmpk_lg_i32 s19, 0x74
	v_fmac_f32_e32 v45, v51, v28
	s_cbranch_scc0 .LBB1_21
.LBB1_17:                               ; =>This Inner Loop Header: Depth=1
	v_mov_b32_e32 v48, 0x80
	v_add_u32_e32 v28, s19, v48
	buffer_load_dword v48, v28, s[0:3], 0 offen offset:4
	buffer_load_dword v51, v28, s[0:3], 0 offen
                                        ; implicit-def: $vgpr50
	s_waitcnt vmcnt(1)
	v_add_f32_e32 v28, -1.0, v48
	v_fma_f32 v28, v28, s18, 1.0
	v_mul_f32_e32 v48, 0x40490e56, v28
	v_and_b32_e32 v49, 0x7fffffff, v48
	v_cmp_nlt_f32_e64 s[4:5], |v48|, s29
                                        ; implicit-def: $vgpr28
	s_and_saveexec_b64 s[6:7], s[4:5]
	s_xor_b64 s[16:17], exec, s[6:7]
	s_cbranch_execz .LBB1_19
; %bb.18:                               ;   in Loop: Header=BB1_17 Depth=1
	v_and_b32_e32 v28, 0x7fffff, v49
	v_or_b32_e32 v50, 0x800000, v28
	v_mad_u64_u32 v[52:53], s[4:5], v50, s30, 0
	v_mov_b32_e32 v28, v53
	v_mad_u64_u32 v[53:54], s[4:5], v50, s31, v[28:29]
	v_mov_b32_e32 v28, v54
	;; [unrolled: 2-line block ×3, first 2 shown]
	v_mad_u64_u32 v[55:56], s[4:5], v50, s34, v[28:29]
	v_lshrrev_b32_e32 v28, 23, v49
	v_add_u32_e32 v58, 0xffffff88, v28
	v_mov_b32_e32 v28, v56
	v_mad_u64_u32 v[56:57], s[4:5], v50, s35, v[28:29]
	v_cmp_lt_u32_e64 s[4:5], 63, v58
	v_cndmask_b32_e64 v28, 0, v46, s[4:5]
	v_add_u32_e32 v59, v28, v58
	v_mov_b32_e32 v28, v57
	v_mad_u64_u32 v[57:58], s[6:7], v50, s36, v[28:29]
	v_cmp_lt_u32_e64 s[6:7], 31, v59
	v_cndmask_b32_e64 v28, 0, v47, s[6:7]
	v_add_u32_e32 v60, v28, v59
	v_mov_b32_e32 v28, v58
	v_mad_u64_u32 v[58:59], s[8:9], v50, s37, v[28:29]
	v_cmp_lt_u32_e64 s[8:9], 31, v60
	v_cndmask_b32_e64 v28, 0, v47, s[8:9]
	v_cndmask_b32_e64 v50, v57, v55, s[4:5]
	v_cndmask_b32_e64 v58, v58, v56, s[4:5]
	;; [unrolled: 1-line block ×4, first 2 shown]
	v_add_u32_e32 v28, v28, v60
	v_cndmask_b32_e64 v59, v58, v50, s[6:7]
	v_cndmask_b32_e64 v57, v57, v58, s[6:7]
	v_cndmask_b32_e64 v50, v50, v56, s[6:7]
	v_cndmask_b32_e64 v53, v55, v53, s[4:5]
	v_cndmask_b32_e64 v57, v57, v59, s[8:9]
	v_cndmask_b32_e64 v58, v59, v50, s[8:9]
	v_sub_u32_e32 v59, 32, v28
	v_cndmask_b32_e64 v55, v56, v53, s[6:7]
	v_alignbit_b32 v60, v57, v58, v59
	v_cmp_eq_u32_e64 s[10:11], 0, v28
	v_cndmask_b32_e64 v50, v50, v55, s[8:9]
	v_cndmask_b32_e64 v28, v60, v57, s[10:11]
	v_alignbit_b32 v56, v58, v50, v59
	v_cndmask_b32_e64 v52, v54, v52, s[4:5]
	v_cndmask_b32_e64 v56, v56, v58, s[10:11]
	v_bfe_u32 v60, v28, 29, 1
	v_cndmask_b32_e64 v52, v53, v52, s[6:7]
	v_alignbit_b32 v57, v28, v56, 30
	v_sub_u32_e32 v61, 0, v60
	v_cndmask_b32_e64 v52, v55, v52, s[8:9]
	v_xor_b32_e32 v57, v57, v61
	v_alignbit_b32 v53, v50, v52, v59
	v_cndmask_b32_e64 v50, v53, v50, s[10:11]
	v_ffbh_u32_e32 v54, v57
	v_alignbit_b32 v53, v56, v50, 30
	v_min_u32_e32 v54, 32, v54
	v_alignbit_b32 v50, v50, v52, 30
	v_xor_b32_e32 v53, v53, v61
	v_sub_u32_e32 v55, 31, v54
	v_xor_b32_e32 v50, v50, v61
	v_alignbit_b32 v56, v57, v53, v55
	v_alignbit_b32 v50, v53, v50, v55
	;; [unrolled: 1-line block ×3, first 2 shown]
	v_ffbh_u32_e32 v53, v52
	v_min_u32_e32 v53, 32, v53
	v_lshrrev_b32_e32 v58, 29, v28
	v_not_b32_e32 v55, v53
	v_alignbit_b32 v50, v52, v50, v55
	v_lshlrev_b32_e32 v52, 31, v58
	v_or_b32_e32 v55, 0x33000000, v52
	v_add_lshl_u32 v53, v53, v54, 23
	v_lshrrev_b32_e32 v50, 9, v50
	v_sub_u32_e32 v53, v55, v53
	v_or_b32_e32 v52, 0.5, v52
	v_lshlrev_b32_e32 v54, 23, v54
	v_or_b32_e32 v50, v53, v50
	v_lshrrev_b32_e32 v53, 9, v56
	v_sub_u32_e32 v52, v52, v54
	v_or_b32_e32 v52, v53, v52
	v_mul_f32_e32 v53, 0x3fc90fda, v52
	v_fma_f32 v54, v52, s38, -v53
	v_fmac_f32_e32 v54, 0x33a22168, v52
	v_fmac_f32_e32 v54, 0x3fc90fda, v50
	v_lshrrev_b32_e32 v28, 30, v28
	v_add_f32_e32 v50, v53, v54
	v_add_u32_e32 v28, v60, v28
.LBB1_19:                               ;   in Loop: Header=BB1_17 Depth=1
	s_andn2_saveexec_b64 s[4:5], s[16:17]
	s_cbranch_execz .LBB1_16
; %bb.20:                               ;   in Loop: Header=BB1_17 Depth=1
	v_mul_f32_e64 v28, |v48|, s39
	v_rndne_f32_e32 v52, v28
	v_cvt_i32_f32_e32 v28, v52
	v_fma_f32 v50, v52, s40, |v48|
	v_fmac_f32_e32 v50, 0xb3a22168, v52
	v_fmac_f32_e32 v50, 0xa7c234c4, v52
	s_branch .LBB1_16
.LBB1_21:
	v_cmp_lt_f32_e64 s[4:5], v34, v45
	s_and_b64 exec, exec, s[4:5]
	s_cbranch_execz .LBB1_212
; %bb.22:
	global_store_dwordx4 v[42:43], v[24:27], off
	global_store_dwordx4 v[42:43], v[20:23], off offset:16
	global_store_dwordx4 v[42:43], v[16:19], off offset:32
	;; [unrolled: 1-line block ×6, first 2 shown]
	global_store_dwordx2 v[42:43], v[40:41], off offset:112
                                        ; implicit-def: $vgpr28
                                        ; implicit-def: $vgpr29
	s_and_saveexec_b64 s[4:5], s[14:15]
	s_xor_b64 s[14:15], exec, s[4:5]
	s_cbranch_execz .LBB1_24
; %bb.23:
	v_and_b32_e32 v28, 0x7fffff, v32
	v_or_b32_e32 v42, 0x800000, v28
	s_mov_b32 s4, 0xfe5163ab
	v_mad_u64_u32 v[28:29], s[4:5], v42, s4, 0
	v_mov_b32_e32 v30, 0
	s_mov_b32 s4, 0x3c439041
	v_mad_u64_u32 v[34:35], s[4:5], v42, s4, v[29:30]
	s_mov_b32 s4, 0xdb629599
	v_not_b32_e32 v39, 63
	v_mov_b32_e32 v29, v35
	v_mad_u64_u32 v[35:36], s[4:5], v42, s4, v[29:30]
	s_mov_b32 s4, 0xf534ddc0
	s_mov_b32 s6, 0x4e441529
	v_mov_b32_e32 v29, v36
	v_mad_u64_u32 v[36:37], s[4:5], v42, s4, v[29:30]
	v_lshrrev_b32_e32 v29, 23, v32
	v_add_u32_e32 v43, 0xffffff88, v29
	v_mov_b32_e32 v29, v37
	s_mov_b32 s4, 0xfc2757d1
	v_mad_u64_u32 v[37:38], s[4:5], v42, s4, v[29:30]
	v_cmp_lt_u32_e64 s[4:5], 63, v43
	v_cndmask_b32_e64 v29, 0, v39, s[4:5]
	v_add_u32_e32 v43, v29, v43
	v_mov_b32_e32 v29, v38
	v_mad_u64_u32 v[38:39], s[6:7], v42, s6, v[29:30]
	v_not_b32_e32 v44, 31
	v_cmp_lt_u32_e64 s[6:7], 31, v43
	v_cndmask_b32_e64 v29, 0, v44, s[6:7]
	v_add_u32_e32 v43, v29, v43
	v_mov_b32_e32 v29, v39
	s_mov_b32 s8, 0xa2f9836e
	v_mad_u64_u32 v[29:30], s[8:9], v42, s8, v[29:30]
	v_cmp_lt_u32_e64 s[8:9], 31, v43
	v_cndmask_b32_e64 v39, 0, v44, s[8:9]
	v_cndmask_b32_e64 v42, v38, v36, s[4:5]
	;; [unrolled: 1-line block ×4, first 2 shown]
	v_add_u32_e32 v39, v39, v43
	v_cndmask_b32_e64 v43, v29, v42, s[6:7]
	v_cndmask_b32_e64 v29, v30, v29, s[6:7]
	;; [unrolled: 1-line block ×6, first 2 shown]
	v_sub_u32_e32 v42, 32, v39
	v_alignbit_b32 v43, v29, v38, v42
	v_cmp_eq_u32_e64 s[10:11], 0, v39
	v_cndmask_b32_e64 v39, v43, v29, s[10:11]
	v_cndmask_b32_e64 v29, v36, v34, s[4:5]
	;; [unrolled: 1-line block ×4, first 2 shown]
	v_alignbit_b32 v36, v38, v34, v42
	v_cndmask_b32_e64 v28, v35, v28, s[4:5]
	v_cndmask_b32_e64 v36, v36, v38, s[10:11]
	v_bfe_u32 v43, v39, 29, 1
	v_cndmask_b32_e64 v28, v29, v28, s[6:7]
	v_alignbit_b32 v37, v39, v36, 30
	v_sub_u32_e32 v44, 0, v43
	v_cndmask_b32_e64 v28, v30, v28, s[8:9]
	v_xor_b32_e32 v37, v37, v44
	v_alignbit_b32 v29, v34, v28, v42
	v_cndmask_b32_e64 v29, v29, v34, s[10:11]
	v_ffbh_u32_e32 v34, v37
	v_alignbit_b32 v30, v36, v29, 30
	v_min_u32_e32 v34, 32, v34
	v_alignbit_b32 v28, v29, v28, 30
	v_xor_b32_e32 v30, v30, v44
	v_sub_u32_e32 v35, 31, v34
	v_xor_b32_e32 v28, v28, v44
	v_alignbit_b32 v36, v37, v30, v35
	v_alignbit_b32 v28, v30, v28, v35
	;; [unrolled: 1-line block ×3, first 2 shown]
	v_ffbh_u32_e32 v30, v29
	v_min_u32_e32 v30, 32, v30
	v_lshrrev_b32_e32 v38, 29, v39
	v_not_b32_e32 v35, v30
	v_alignbit_b32 v28, v29, v28, v35
	v_lshlrev_b32_e32 v29, 31, v38
	v_or_b32_e32 v35, 0x33000000, v29
	v_add_lshl_u32 v30, v30, v34, 23
	v_lshrrev_b32_e32 v28, 9, v28
	v_sub_u32_e32 v30, v35, v30
	v_or_b32_e32 v29, 0.5, v29
	v_lshlrev_b32_e32 v34, 23, v34
	v_or_b32_e32 v28, v30, v28
	v_lshrrev_b32_e32 v30, 9, v36
	v_sub_u32_e32 v29, v29, v34
	v_or_b32_e32 v29, v30, v29
	s_mov_b32 s4, 0x3fc90fda
	v_mul_f32_e32 v30, 0x3fc90fda, v29
	v_fma_f32 v34, v29, s4, -v30
	v_fmac_f32_e32 v34, 0x33a22168, v29
	v_fmac_f32_e32 v34, 0x3fc90fda, v28
	v_lshrrev_b32_e32 v28, 30, v39
	v_add_f32_e32 v29, v30, v34
	v_add_u32_e32 v28, v43, v28
.LBB1_24:
	s_andn2_saveexec_b64 s[4:5], s[14:15]
	s_cbranch_execz .LBB1_26
; %bb.25:
	s_mov_b32 s6, 0x3f22f983
	v_mul_f32_e64 v28, |v31|, s6
	v_rndne_f32_e32 v30, v28
	s_mov_b32 s6, 0xbfc90fda
	v_cvt_i32_f32_e32 v28, v30
	v_fma_f32 v29, v30, s6, |v31|
	v_fmac_f32_e32 v29, 0xb3a22168, v30
	v_fmac_f32_e32 v29, 0xa7c234c4, v30
.LBB1_26:
	s_or_b64 exec, exec, s[4:5]
	v_mul_f32_e32 v36, v29, v29
	v_mov_b32_e32 v34, 0x3c0881c4
	v_fmac_f32_e32 v34, 0xb94c1982, v36
	v_mov_b32_e32 v30, 0xbe2aaa9d
	v_fma_f32 v34, v36, v34, v30
	v_mul_f32_e32 v34, v36, v34
	v_mov_b32_e32 v35, 0xbab64f3b
	v_fmac_f32_e32 v29, v29, v34
	v_fmac_f32_e32 v35, 0x37d75334, v36
	v_mov_b32_e32 v34, 0x3d2aabf7
	v_fma_f32 v37, v36, v35, v34
	v_mov_b32_e32 v35, 0xbf000004
	v_fma_f32 v37, v36, v37, v35
	v_fma_f32 v36, v36, v37, 1.0
	v_and_b32_e32 v37, 1, v28
	v_lshlrev_b32_e32 v28, 30, v28
	v_cmp_eq_u32_e64 s[4:5], 0, v37
	v_and_b32_e32 v28, 0x80000000, v28
	v_cndmask_b32_e64 v29, v36, v29, s[4:5]
	v_xor_b32_e32 v28, v32, v28
	v_xor_b32_e32 v28, v28, v29
	;; [unrolled: 1-line block ×3, first 2 shown]
	v_mov_b32_e32 v31, 0x7fc00000
	v_cndmask_b32_e32 v28, v31, v28, vcc
	v_cmp_eq_f32_e32 vcc, 1.0, v28
	v_frexp_mant_f32_e64 v32, |v28|
	s_mov_b32 s15, 0x3f2aaaab
	v_cndmask_b32_e64 v29, 2.0, 1.0, vcc
	v_cmp_gt_f32_e32 vcc, s15, v32
	v_cndmask_b32_e64 v36, 1.0, 2.0, vcc
	v_mul_f32_e32 v32, v32, v36
	v_add_f32_e32 v36, 1.0, v32
	v_rcp_f32_e32 v37, v36
	v_add_f32_e32 v38, -1.0, v32
	v_add_f32_e32 v39, -1.0, v36
	v_sub_f32_e32 v32, v32, v39
	v_mul_f32_e32 v39, v38, v37
	v_mul_f32_e32 v42, v36, v39
	v_fma_f32 v36, v39, v36, -v42
	v_fmac_f32_e32 v36, v39, v32
	v_add_f32_e32 v32, v42, v36
	v_sub_f32_e32 v43, v38, v32
	v_sub_f32_e32 v42, v32, v42
	;; [unrolled: 1-line block ×5, first 2 shown]
	v_add_f32_e32 v32, v36, v32
	v_add_f32_e32 v32, v43, v32
	v_mul_f32_e32 v32, v37, v32
	v_add_f32_e32 v38, v39, v32
	v_sub_f32_e32 v36, v38, v39
	v_sub_f32_e32 v39, v32, v36
	v_mul_f32_e32 v36, v38, v38
	v_fma_f32 v37, v38, v38, -v36
	v_add_f32_e32 v32, v39, v39
	v_fmac_f32_e32 v37, v38, v32
	v_add_f32_e32 v42, v36, v37
	v_sub_f32_e32 v36, v42, v36
	v_sub_f32_e32 v36, v37, v36
	v_mul_f32_e32 v37, v38, v42
	v_fma_f32 v44, v42, v38, -v37
	v_fmac_f32_e32 v44, v42, v39
	v_mov_b32_e32 v43, 0x3e91f4c4
	v_fmac_f32_e32 v44, v36, v38
	v_fmac_f32_e32 v43, 0x3e76c4e1, v42
	v_mov_b32_e32 v32, 0x3ecccdef
	v_add_f32_e32 v45, v37, v44
	v_fma_f32 v43, v42, v43, v32
	v_sub_f32_e32 v37, v45, v37
	v_sub_f32_e32 v44, v44, v37
	v_mul_f32_e32 v37, v42, v43
	v_fma_f32 v42, v42, v43, -v37
	v_fmac_f32_e32 v42, v36, v43
	v_add_f32_e32 v43, v37, v42
	v_sub_f32_e32 v36, v43, v37
	v_sub_f32_e32 v42, v42, v36
	v_cvt_f64_f32_e64 v[36:37], |v28|
	v_add_f32_e32 v46, 0x3f2aaaaa, v43
	v_add_f32_e32 v47, 0xbf2aaaaa, v46
	;; [unrolled: 1-line block ×3, first 2 shown]
	v_frexp_exp_i32_f64_e32 v36, v[36:37]
	v_sub_f32_e32 v43, v43, v47
	v_add_f32_e32 v37, v42, v43
	v_add_f32_e32 v42, v46, v37
	v_sub_f32_e32 v43, v46, v42
	v_add_f32_e32 v37, v37, v43
	v_mul_f32_e32 v43, v45, v42
	v_fma_f32 v46, v45, v42, -v43
	v_subbrev_co_u32_e32 v36, vcc, 0, v36, vcc
	v_cvt_f32_i32_e32 v36, v36
	v_fmac_f32_e32 v46, v45, v37
	s_mov_b32 s16, 0x3f317218
	v_fmac_f32_e32 v46, v44, v42
	v_mul_f32_e32 v37, 0x3f317218, v36
	v_fma_f32 v42, v36, s16, -v37
	v_fmac_f32_e32 v42, 0xb102e308, v36
	v_ldexp_f32 v36, v39, 1
	v_add_f32_e32 v39, v37, v42
	v_sub_f32_e32 v37, v39, v37
	v_ldexp_f32 v38, v38, 1
	v_sub_f32_e32 v37, v42, v37
	v_add_f32_e32 v42, v43, v46
	v_sub_f32_e32 v43, v42, v43
	v_add_f32_e32 v44, v38, v42
	v_sub_f32_e32 v43, v46, v43
	v_sub_f32_e32 v38, v44, v38
	;; [unrolled: 1-line block ×3, first 2 shown]
	v_add_f32_e32 v36, v36, v43
	v_add_f32_e32 v36, v36, v38
	;; [unrolled: 1-line block ×3, first 2 shown]
	v_sub_f32_e32 v42, v38, v44
	v_sub_f32_e32 v36, v36, v42
	v_add_f32_e32 v42, v39, v38
	v_sub_f32_e32 v43, v42, v39
	v_sub_f32_e32 v44, v42, v43
	;; [unrolled: 1-line block ×4, first 2 shown]
	v_add_f32_e32 v38, v38, v39
	v_add_f32_e32 v39, v37, v36
	v_sub_f32_e32 v43, v39, v37
	v_sub_f32_e32 v44, v39, v43
	;; [unrolled: 1-line block ×4, first 2 shown]
	v_add_f32_e32 v36, v36, v37
	v_add_f32_e32 v37, v39, v38
	;; [unrolled: 1-line block ×3, first 2 shown]
	v_sub_f32_e32 v39, v38, v42
	v_sub_f32_e32 v37, v37, v39
	v_add_f32_e32 v36, v36, v37
	v_add_f32_e32 v37, v38, v36
	v_sub_f32_e32 v38, v37, v38
	v_sub_f32_e32 v36, v36, v38
	v_mul_f32_e32 v38, v29, v37
	v_fma_f32 v37, v29, v37, -v38
	v_fmac_f32_e32 v37, v29, v36
	s_movk_i32 s17, 0x204
	v_add_f32_e32 v36, v38, v37
	v_cmp_class_f32_e64 vcc, v38, s17
	v_sub_f32_e32 v39, v36, v38
	v_cndmask_b32_e32 v38, v36, v38, vcc
	s_mov_b32 s19, 0x42b17218
	v_mov_b32_e32 v36, 0x37000000
	v_cmp_eq_f32_e32 vcc, s19, v38
	v_sub_f32_e32 v37, v37, v39
	v_cndmask_b32_e32 v39, 0, v36, vcc
	v_sub_f32_e32 v42, v38, v39
	s_mov_b32 s20, 0x3fb8aa3b
	v_mul_f32_e32 v43, 0x3fb8aa3b, v42
	v_fma_f32 v44, v42, s20, -v43
	v_rndne_f32_e32 v45, v43
	v_fmac_f32_e32 v44, 0x32a5705f, v42
	v_sub_f32_e32 v43, v43, v45
	v_add_f32_e32 v43, v43, v44
	v_exp_f32_e32 v43, v43
	v_cvt_i32_f32_e32 v44, v45
	s_mov_b32 s18, 0x7f800000
	v_cmp_neq_f32_e64 vcc, |v38|, s18
	v_cndmask_b32_e32 v37, 0, v37, vcc
	s_mov_b32 s21, 0xc2ce8ed0
	v_add_f32_e32 v38, v39, v37
	v_ldexp_f32 v37, v43, v44
	v_cmp_ngt_f32_e32 vcc, s21, v42
	v_cndmask_b32_e32 v39, 0, v37, vcc
	v_mov_b32_e32 v37, 0x7f800000
	v_cmp_nlt_f32_e32 vcc, s19, v42
	v_cndmask_b32_e32 v39, v37, v39, vcc
	v_fma_f32 v38, v39, v38, v39
	v_cmp_class_f32_e64 vcc, v39, s17
	v_cndmask_b32_e32 v38, v38, v39, vcc
	v_trunc_f32_e32 v39, v29
	v_cmp_eq_f32_e32 vcc, v39, v29
	v_mul_f32_e32 v29, 0.5, v29
	v_trunc_f32_e32 v39, v29
	v_cmp_neq_f32_e64 s[4:5], v39, v29
	s_and_b64 s[4:5], vcc, s[4:5]
	v_cndmask_b32_e64 v29, 1.0, v28, s[4:5]
	s_brev_b32 s22, -2
	v_bfi_b32 v29, s22, v38, v29
	v_cndmask_b32_e32 v38, v31, v29, vcc
	v_cmp_gt_f32_e32 vcc, 0, v28
	v_cndmask_b32_e32 v29, v29, v38, vcc
	v_cmp_eq_f32_e32 vcc, 0, v28
	v_cmp_class_f32_e64 s[6:7], v28, s17
	v_cndmask_b32_e64 v38, v37, 0, vcc
	v_cndmask_b32_e64 v39, 0, v28, s[4:5]
	v_bfi_b32 v38, s22, v38, v39
	s_or_b64 vcc, vcc, s[6:7]
	v_cndmask_b32_e32 v29, v29, v38, vcc
	v_cmp_o_f32_e32 vcc, v28, v28
	v_cndmask_b32_e32 v28, v31, v29, vcc
	s_mov_b32 s14, 0
	v_add_f32_e32 v33, v33, v28
	s_mov_b32 s23, 0x3e800000
	s_brev_b32 s24, 18
	s_mov_b32 s25, 0xfe5163ab
	v_mov_b32_e32 v29, 0
	s_mov_b32 s26, 0x3c439041
	s_mov_b32 s27, 0xdb629599
	;; [unrolled: 1-line block ×9, first 2 shown]
	s_movk_i32 s36, 0x1f8
	s_mov_b32 s37, 0x41200000
	v_not_b32_e32 v38, 63
	v_not_b32_e32 v39, 31
	s_branch .LBB1_28
.LBB1_27:                               ;   in Loop: Header=BB1_28 Depth=1
	s_or_b64 exec, exec, s[4:5]
	s_waitcnt vmcnt(0)
	v_add_f32_e32 v45, -1.0, v45
	v_fma_f32 v45, v45, s23, 1.0
	v_add_f32_e32 v45, -1.0, v45
	v_cmp_eq_f32_e32 vcc, 1.0, v45
	v_frexp_mant_f32_e64 v47, |v45|
	v_cndmask_b32_e64 v46, 2.0, 1.0, vcc
	v_cmp_gt_f32_e32 vcc, s15, v47
	v_cndmask_b32_e64 v48, 1.0, 2.0, vcc
	v_mul_f32_e32 v47, v47, v48
	v_add_f32_e32 v48, 1.0, v47
	v_rcp_f32_e32 v49, v48
	v_add_f32_e32 v50, -1.0, v47
	v_add_f32_e32 v51, -1.0, v48
	v_sub_f32_e32 v47, v47, v51
	v_mul_f32_e32 v51, v50, v49
	v_mul_f32_e32 v52, v48, v51
	v_fma_f32 v48, v51, v48, -v52
	v_fmac_f32_e32 v48, v51, v47
	v_add_f32_e32 v47, v52, v48
	v_sub_f32_e32 v53, v50, v47
	v_sub_f32_e32 v52, v47, v52
	;; [unrolled: 1-line block ×5, first 2 shown]
	v_add_f32_e32 v47, v48, v47
	v_add_f32_e32 v47, v53, v47
	v_mul_f32_e32 v47, v49, v47
	v_add_f32_e32 v49, v51, v47
	v_sub_f32_e32 v48, v49, v51
	v_sub_f32_e32 v50, v47, v48
	v_mul_f32_e32 v47, v49, v49
	v_fma_f32 v48, v49, v49, -v47
	v_add_f32_e32 v51, v50, v50
	v_fmac_f32_e32 v48, v49, v51
	v_add_f32_e32 v51, v47, v48
	v_sub_f32_e32 v47, v51, v47
	v_sub_f32_e32 v47, v48, v47
	v_mul_f32_e32 v48, v49, v51
	v_fma_f32 v53, v51, v49, -v48
	v_fmac_f32_e32 v53, v51, v50
	v_mov_b32_e32 v52, 0x3e91f4c4
	v_fmac_f32_e32 v53, v47, v49
	v_fmac_f32_e32 v52, 0x3e76c4e1, v51
	v_add_f32_e32 v54, v48, v53
	v_fma_f32 v52, v51, v52, v32
	v_sub_f32_e32 v48, v54, v48
	v_sub_f32_e32 v53, v53, v48
	v_mul_f32_e32 v48, v51, v52
	v_fma_f32 v51, v51, v52, -v48
	v_fmac_f32_e32 v51, v47, v52
	v_add_f32_e32 v52, v48, v51
	v_sub_f32_e32 v56, v52, v48
	v_cvt_f64_f32_e64 v[47:48], |v45|
	v_add_f32_e32 v55, 0x3f2aaaaa, v52
	v_sub_f32_e32 v51, v51, v56
	v_add_f32_e32 v56, 0xbf2aaaaa, v55
	v_frexp_exp_i32_f64_e32 v47, v[47:48]
	v_add_f32_e32 v51, 0x31739010, v51
	v_sub_f32_e32 v48, v52, v56
	v_add_f32_e32 v48, v51, v48
	v_add_f32_e32 v51, v55, v48
	v_sub_f32_e32 v52, v55, v51
	v_add_f32_e32 v48, v48, v52
	v_mul_f32_e32 v52, v54, v51
	v_subbrev_co_u32_e32 v47, vcc, 0, v47, vcc
	v_cvt_f32_i32_e32 v47, v47
	v_fma_f32 v55, v54, v51, -v52
	v_fmac_f32_e32 v55, v54, v48
	v_fmac_f32_e32 v55, v53, v51
	v_mul_f32_e32 v48, 0x3f317218, v47
	v_fma_f32 v51, v47, s16, -v48
	v_fmac_f32_e32 v51, 0xb102e308, v47
	v_ldexp_f32 v47, v50, 1
	v_add_f32_e32 v50, v48, v51
	v_sub_f32_e32 v48, v50, v48
	v_ldexp_f32 v49, v49, 1
	v_sub_f32_e32 v48, v51, v48
	v_add_f32_e32 v51, v52, v55
	v_sub_f32_e32 v52, v51, v52
	v_add_f32_e32 v53, v49, v51
	v_sub_f32_e32 v52, v55, v52
	v_sub_f32_e32 v49, v53, v49
	;; [unrolled: 1-line block ×3, first 2 shown]
	v_add_f32_e32 v47, v47, v52
	v_add_f32_e32 v47, v47, v49
	;; [unrolled: 1-line block ×3, first 2 shown]
	v_sub_f32_e32 v51, v49, v53
	v_sub_f32_e32 v47, v47, v51
	v_add_f32_e32 v51, v50, v49
	v_sub_f32_e32 v52, v51, v50
	v_sub_f32_e32 v53, v51, v52
	v_sub_f32_e32 v50, v50, v53
	v_sub_f32_e32 v49, v49, v52
	v_add_f32_e32 v49, v49, v50
	v_add_f32_e32 v50, v48, v47
	v_sub_f32_e32 v52, v50, v48
	v_sub_f32_e32 v53, v50, v52
	;; [unrolled: 1-line block ×4, first 2 shown]
	v_add_f32_e32 v47, v47, v48
	v_add_f32_e32 v48, v50, v49
	;; [unrolled: 1-line block ×3, first 2 shown]
	v_sub_f32_e32 v50, v49, v51
	v_sub_f32_e32 v48, v48, v50
	v_add_f32_e32 v47, v47, v48
	v_add_f32_e32 v48, v49, v47
	v_sub_f32_e32 v49, v48, v49
	v_sub_f32_e32 v47, v47, v49
	v_mul_f32_e32 v49, v46, v48
	v_fma_f32 v48, v46, v48, -v49
	v_fmac_f32_e32 v48, v46, v47
	v_add_f32_e32 v47, v49, v48
	v_cmp_class_f32_e64 vcc, v49, s17
	v_sub_f32_e32 v50, v47, v49
	v_cndmask_b32_e32 v47, v47, v49, vcc
	v_cmp_eq_f32_e32 vcc, s19, v47
	v_cndmask_b32_e32 v49, 0, v36, vcc
	v_sub_f32_e32 v48, v48, v50
	v_sub_f32_e32 v50, v47, v49
	v_mul_f32_e32 v51, 0x3fb8aa3b, v50
	v_fma_f32 v52, v50, s20, -v51
	v_rndne_f32_e32 v53, v51
	v_fmac_f32_e32 v52, 0x32a5705f, v50
	v_sub_f32_e32 v51, v51, v53
	v_add_f32_e32 v51, v51, v52
	v_exp_f32_e32 v51, v51
	v_cvt_i32_f32_e32 v52, v53
	v_cmp_neq_f32_e64 vcc, |v47|, s18
	v_cndmask_b32_e32 v47, 0, v48, vcc
	v_cmp_ngt_f32_e32 vcc, s21, v50
	v_ldexp_f32 v48, v51, v52
	v_cndmask_b32_e32 v48, 0, v48, vcc
	v_cmp_nlt_f32_e32 vcc, s19, v50
	v_add_f32_e32 v47, v49, v47
	v_cndmask_b32_e32 v48, v37, v48, vcc
	v_fma_f32 v47, v48, v47, v48
	v_cmp_class_f32_e64 vcc, v48, s17
	v_cndmask_b32_e32 v47, v47, v48, vcc
	v_trunc_f32_e32 v48, v46
	v_cmp_eq_f32_e32 vcc, v48, v46
	v_mul_f32_e32 v46, 0.5, v46
	v_trunc_f32_e32 v48, v46
	v_cmp_neq_f32_e64 s[4:5], v48, v46
	s_and_b64 s[4:5], vcc, s[4:5]
	v_cndmask_b32_e64 v46, 1.0, v45, s[4:5]
	v_bfi_b32 v46, s22, v47, v46
	v_cndmask_b32_e32 v47, v31, v46, vcc
	v_cmp_gt_f32_e32 vcc, 0, v45
	v_cndmask_b32_e32 v46, v46, v47, vcc
	v_cmp_eq_f32_e32 vcc, 0, v45
	v_cmp_class_f32_e64 s[6:7], v45, s17
	v_cndmask_b32_e64 v47, v37, 0, vcc
	v_cndmask_b32_e64 v48, 0, v45, s[4:5]
	v_bfi_b32 v47, s22, v47, v48
	s_or_b64 vcc, vcc, s[6:7]
	v_cndmask_b32_e32 v46, v46, v47, vcc
	v_cmp_o_f32_e32 vcc, v45, v45
	v_cndmask_b32_e32 v45, v31, v46, vcc
	v_mul_f32_e32 v46, v44, v44
	v_mov_b32_e32 v47, 0x3c0881c4
	v_fmac_f32_e32 v47, 0xb94c1982, v46
	v_fma_f32 v47, v46, v47, v30
	v_mul_f32_e32 v47, v46, v47
	v_fmac_f32_e32 v44, v44, v47
	v_mov_b32_e32 v47, 0xbab64f3b
	v_fmac_f32_e32 v47, 0x37d75334, v46
	v_fma_f32 v47, v46, v47, v34
	v_fma_f32 v47, v46, v47, v35
	v_fma_f32 v46, v46, v47, 1.0
	v_and_b32_e32 v47, 1, v28
	v_lshlrev_b32_e32 v28, 30, v28
	v_cmp_eq_u32_e32 vcc, 0, v47
	v_and_b32_e32 v28, 0x80000000, v28
	v_xor_b32_e32 v43, v43, v42
	v_cndmask_b32_e32 v44, v46, v44, vcc
	v_xor_b32_e32 v28, v43, v28
	v_xor_b32_e32 v28, v28, v44
	v_cmp_class_f32_e64 vcc, v42, s36
	v_cndmask_b32_e32 v28, v31, v28, vcc
	v_cmp_eq_f32_e32 vcc, 1.0, v28
	v_frexp_mant_f32_e64 v43, |v28|
	v_cndmask_b32_e64 v42, 2.0, 1.0, vcc
	v_cmp_gt_f32_e32 vcc, s15, v43
	v_cndmask_b32_e64 v44, 1.0, 2.0, vcc
	v_mul_f32_e32 v43, v43, v44
	v_add_f32_e32 v44, 1.0, v43
	v_rcp_f32_e32 v46, v44
	v_add_f32_e32 v47, -1.0, v43
	v_add_f32_e32 v48, -1.0, v44
	v_sub_f32_e32 v43, v43, v48
	v_mul_f32_e32 v48, v47, v46
	v_mul_f32_e32 v49, v44, v48
	v_fma_f32 v44, v48, v44, -v49
	v_fmac_f32_e32 v44, v48, v43
	v_add_f32_e32 v43, v49, v44
	v_sub_f32_e32 v50, v47, v43
	v_sub_f32_e32 v49, v43, v49
	;; [unrolled: 1-line block ×5, first 2 shown]
	v_add_f32_e32 v43, v44, v43
	v_add_f32_e32 v43, v50, v43
	v_mul_f32_e32 v43, v46, v43
	v_add_f32_e32 v46, v48, v43
	v_sub_f32_e32 v44, v46, v48
	v_sub_f32_e32 v47, v43, v44
	v_mul_f32_e32 v43, v46, v46
	v_fma_f32 v44, v46, v46, -v43
	v_add_f32_e32 v48, v47, v47
	v_fmac_f32_e32 v44, v46, v48
	v_add_f32_e32 v48, v43, v44
	v_sub_f32_e32 v43, v48, v43
	v_sub_f32_e32 v43, v44, v43
	v_mul_f32_e32 v44, v46, v48
	v_fma_f32 v50, v48, v46, -v44
	v_fmac_f32_e32 v50, v48, v47
	v_mov_b32_e32 v49, 0x3e91f4c4
	v_fmac_f32_e32 v50, v43, v46
	v_fmac_f32_e32 v49, 0x3e76c4e1, v48
	v_add_f32_e32 v51, v44, v50
	v_fma_f32 v49, v48, v49, v32
	v_sub_f32_e32 v44, v51, v44
	v_sub_f32_e32 v50, v50, v44
	v_mul_f32_e32 v44, v48, v49
	v_fma_f32 v48, v48, v49, -v44
	v_fmac_f32_e32 v48, v43, v49
	v_add_f32_e32 v49, v44, v48
	v_sub_f32_e32 v53, v49, v44
	v_cvt_f64_f32_e64 v[43:44], |v28|
	v_add_f32_e32 v52, 0x3f2aaaaa, v49
	v_sub_f32_e32 v48, v48, v53
	v_add_f32_e32 v53, 0xbf2aaaaa, v52
	v_frexp_exp_i32_f64_e32 v43, v[43:44]
	v_add_f32_e32 v48, 0x31739010, v48
	v_sub_f32_e32 v44, v49, v53
	v_add_f32_e32 v44, v48, v44
	v_add_f32_e32 v48, v52, v44
	v_sub_f32_e32 v49, v52, v48
	v_add_f32_e32 v44, v44, v49
	v_mul_f32_e32 v49, v51, v48
	v_subbrev_co_u32_e32 v43, vcc, 0, v43, vcc
	v_cvt_f32_i32_e32 v43, v43
	v_fma_f32 v52, v51, v48, -v49
	v_fmac_f32_e32 v52, v51, v44
	v_fmac_f32_e32 v52, v50, v48
	v_mul_f32_e32 v44, 0x3f317218, v43
	v_fma_f32 v48, v43, s16, -v44
	v_fmac_f32_e32 v48, 0xb102e308, v43
	v_ldexp_f32 v43, v47, 1
	v_add_f32_e32 v47, v44, v48
	v_sub_f32_e32 v44, v47, v44
	v_ldexp_f32 v46, v46, 1
	v_sub_f32_e32 v44, v48, v44
	v_add_f32_e32 v48, v49, v52
	v_sub_f32_e32 v49, v48, v49
	v_add_f32_e32 v50, v46, v48
	v_sub_f32_e32 v49, v52, v49
	v_sub_f32_e32 v46, v50, v46
	;; [unrolled: 1-line block ×3, first 2 shown]
	v_add_f32_e32 v43, v43, v49
	v_add_f32_e32 v43, v43, v46
	;; [unrolled: 1-line block ×3, first 2 shown]
	v_sub_f32_e32 v48, v46, v50
	v_sub_f32_e32 v43, v43, v48
	v_add_f32_e32 v48, v47, v46
	v_sub_f32_e32 v49, v48, v47
	v_sub_f32_e32 v50, v48, v49
	;; [unrolled: 1-line block ×4, first 2 shown]
	v_add_f32_e32 v46, v46, v47
	v_add_f32_e32 v47, v44, v43
	v_sub_f32_e32 v49, v47, v44
	v_sub_f32_e32 v50, v47, v49
	;; [unrolled: 1-line block ×4, first 2 shown]
	v_add_f32_e32 v43, v43, v44
	v_add_f32_e32 v44, v47, v46
	v_add_f32_e32 v46, v48, v44
	v_sub_f32_e32 v47, v46, v48
	v_sub_f32_e32 v44, v44, v47
	v_add_f32_e32 v43, v43, v44
	v_add_f32_e32 v44, v46, v43
	v_sub_f32_e32 v46, v44, v46
	v_sub_f32_e32 v43, v43, v46
	v_mul_f32_e32 v46, v42, v44
	v_fma_f32 v44, v42, v44, -v46
	v_fmac_f32_e32 v44, v42, v43
	v_add_f32_e32 v43, v46, v44
	v_cmp_class_f32_e64 vcc, v46, s17
	v_sub_f32_e32 v47, v43, v46
	v_cndmask_b32_e32 v43, v43, v46, vcc
	v_cmp_eq_f32_e32 vcc, s19, v43
	v_cndmask_b32_e32 v46, 0, v36, vcc
	v_sub_f32_e32 v44, v44, v47
	v_sub_f32_e32 v47, v43, v46
	v_mul_f32_e32 v48, 0x3fb8aa3b, v47
	v_fma_f32 v49, v47, s20, -v48
	v_rndne_f32_e32 v50, v48
	v_fmac_f32_e32 v49, 0x32a5705f, v47
	v_sub_f32_e32 v48, v48, v50
	v_add_f32_e32 v48, v48, v49
	v_exp_f32_e32 v48, v48
	v_cvt_i32_f32_e32 v49, v50
	v_cmp_neq_f32_e64 vcc, |v43|, s18
	v_cndmask_b32_e32 v43, 0, v44, vcc
	v_cmp_ngt_f32_e32 vcc, s21, v47
	v_ldexp_f32 v44, v48, v49
	v_cndmask_b32_e32 v44, 0, v44, vcc
	v_cmp_nlt_f32_e32 vcc, s19, v47
	v_add_f32_e32 v43, v46, v43
	v_cndmask_b32_e32 v44, v37, v44, vcc
	v_fma_f32 v43, v44, v43, v44
	v_cmp_class_f32_e64 vcc, v44, s17
	v_cndmask_b32_e32 v43, v43, v44, vcc
	v_trunc_f32_e32 v44, v42
	v_cmp_eq_f32_e32 vcc, v44, v42
	v_mul_f32_e32 v42, 0.5, v42
	v_trunc_f32_e32 v44, v42
	v_cmp_neq_f32_e64 s[4:5], v44, v42
	s_and_b64 s[4:5], vcc, s[4:5]
	v_cndmask_b32_e64 v42, 1.0, v28, s[4:5]
	v_bfi_b32 v42, s22, v43, v42
	v_cndmask_b32_e32 v43, v31, v42, vcc
	v_cmp_gt_f32_e32 vcc, 0, v28
	v_cndmask_b32_e32 v42, v42, v43, vcc
	v_cmp_eq_f32_e32 vcc, 0, v28
	v_cmp_class_f32_e64 s[6:7], v28, s17
	v_cndmask_b32_e64 v43, v37, 0, vcc
	v_cndmask_b32_e64 v44, 0, v28, s[4:5]
	v_bfi_b32 v43, s22, v43, v44
	s_or_b64 vcc, vcc, s[6:7]
	v_cndmask_b32_e32 v42, v42, v43, vcc
	v_fma_f32 v42, v42, s37, 1.0
	v_cmp_o_f32_e32 vcc, v28, v28
	v_cndmask_b32_e32 v28, v31, v42, vcc
	s_add_i32 s14, s14, 4
	s_cmpk_lg_i32 s14, 0x74
	v_fmac_f32_e32 v33, v45, v28
	s_cbranch_scc0 .LBB1_32
.LBB1_28:                               ; =>This Inner Loop Header: Depth=1
	v_mov_b32_e32 v28, s14
	buffer_load_dword v42, v28, s[0:3], 0 offen offset:4
	buffer_load_dword v45, v28, s[0:3], 0 offen
                                        ; implicit-def: $vgpr44
	s_waitcnt vmcnt(1)
	v_add_f32_e32 v28, -1.0, v42
	v_fma_f32 v28, v28, s23, 1.0
	v_mul_f32_e32 v42, 0x40490e56, v28
	v_and_b32_e32 v43, 0x7fffffff, v42
	v_cmp_nlt_f32_e64 s[4:5], |v42|, s24
                                        ; implicit-def: $vgpr28
	s_and_saveexec_b64 s[6:7], s[4:5]
	s_xor_b64 s[10:11], exec, s[6:7]
	s_cbranch_execz .LBB1_30
; %bb.29:                               ;   in Loop: Header=BB1_28 Depth=1
	v_and_b32_e32 v28, 0x7fffff, v43
	v_or_b32_e32 v44, 0x800000, v28
	v_mad_u64_u32 v[46:47], s[4:5], v44, s25, 0
	v_mov_b32_e32 v28, v47
	v_mad_u64_u32 v[47:48], s[4:5], v44, s26, v[28:29]
	v_mov_b32_e32 v28, v48
	;; [unrolled: 2-line block ×3, first 2 shown]
	v_mad_u64_u32 v[49:50], s[4:5], v44, s28, v[28:29]
	v_lshrrev_b32_e32 v28, 23, v43
	v_add_u32_e32 v52, 0xffffff88, v28
	v_mov_b32_e32 v28, v50
	v_mad_u64_u32 v[50:51], s[4:5], v44, s29, v[28:29]
	v_cmp_lt_u32_e32 vcc, 63, v52
	v_cndmask_b32_e32 v28, 0, v38, vcc
	v_add_u32_e32 v53, v28, v52
	v_mov_b32_e32 v28, v51
	v_mad_u64_u32 v[51:52], s[4:5], v44, s30, v[28:29]
	v_cmp_lt_u32_e64 s[4:5], 31, v53
	v_cndmask_b32_e64 v28, 0, v39, s[4:5]
	v_add_u32_e32 v54, v28, v53
	v_mov_b32_e32 v28, v52
	v_mad_u64_u32 v[52:53], s[6:7], v44, s31, v[28:29]
	v_cmp_lt_u32_e64 s[6:7], 31, v54
	v_cndmask_b32_e64 v28, 0, v39, s[6:7]
	v_cndmask_b32_e32 v44, v51, v49, vcc
	v_cndmask_b32_e32 v52, v52, v50, vcc
	;; [unrolled: 1-line block ×4, first 2 shown]
	v_add_u32_e32 v28, v28, v54
	v_cndmask_b32_e64 v53, v52, v44, s[4:5]
	v_cndmask_b32_e64 v51, v51, v52, s[4:5]
	;; [unrolled: 1-line block ×3, first 2 shown]
	v_cndmask_b32_e32 v47, v49, v47, vcc
	v_cndmask_b32_e64 v51, v51, v53, s[6:7]
	v_cndmask_b32_e64 v52, v53, v44, s[6:7]
	v_sub_u32_e32 v53, 32, v28
	v_cndmask_b32_e64 v49, v50, v47, s[4:5]
	v_alignbit_b32 v54, v51, v52, v53
	v_cmp_eq_u32_e64 s[8:9], 0, v28
	v_cndmask_b32_e64 v44, v44, v49, s[6:7]
	v_cndmask_b32_e64 v28, v54, v51, s[8:9]
	v_alignbit_b32 v50, v52, v44, v53
	v_cndmask_b32_e32 v46, v48, v46, vcc
	v_cndmask_b32_e64 v50, v50, v52, s[8:9]
	v_bfe_u32 v54, v28, 29, 1
	v_cndmask_b32_e64 v46, v47, v46, s[4:5]
	v_alignbit_b32 v51, v28, v50, 30
	v_sub_u32_e32 v55, 0, v54
	v_cndmask_b32_e64 v46, v49, v46, s[6:7]
	v_xor_b32_e32 v51, v51, v55
	v_alignbit_b32 v47, v44, v46, v53
	v_cndmask_b32_e64 v44, v47, v44, s[8:9]
	v_ffbh_u32_e32 v48, v51
	v_alignbit_b32 v47, v50, v44, 30
	v_min_u32_e32 v48, 32, v48
	v_alignbit_b32 v44, v44, v46, 30
	v_xor_b32_e32 v47, v47, v55
	v_sub_u32_e32 v49, 31, v48
	v_xor_b32_e32 v44, v44, v55
	v_alignbit_b32 v50, v51, v47, v49
	v_alignbit_b32 v44, v47, v44, v49
	;; [unrolled: 1-line block ×3, first 2 shown]
	v_ffbh_u32_e32 v47, v46
	v_min_u32_e32 v47, 32, v47
	v_lshrrev_b32_e32 v52, 29, v28
	v_not_b32_e32 v49, v47
	v_alignbit_b32 v44, v46, v44, v49
	v_lshlrev_b32_e32 v46, 31, v52
	v_or_b32_e32 v49, 0x33000000, v46
	v_add_lshl_u32 v47, v47, v48, 23
	v_lshrrev_b32_e32 v44, 9, v44
	v_sub_u32_e32 v47, v49, v47
	v_or_b32_e32 v46, 0.5, v46
	v_lshlrev_b32_e32 v48, 23, v48
	v_or_b32_e32 v44, v47, v44
	v_lshrrev_b32_e32 v47, 9, v50
	v_sub_u32_e32 v46, v46, v48
	v_or_b32_e32 v46, v47, v46
	v_mul_f32_e32 v47, 0x3fc90fda, v46
	v_fma_f32 v48, v46, s33, -v47
	v_fmac_f32_e32 v48, 0x33a22168, v46
	v_fmac_f32_e32 v48, 0x3fc90fda, v44
	v_lshrrev_b32_e32 v28, 30, v28
	v_add_f32_e32 v44, v47, v48
	v_add_u32_e32 v28, v54, v28
.LBB1_30:                               ;   in Loop: Header=BB1_28 Depth=1
	s_andn2_saveexec_b64 s[4:5], s[10:11]
	s_cbranch_execz .LBB1_27
; %bb.31:                               ;   in Loop: Header=BB1_28 Depth=1
	v_mul_f32_e64 v28, |v42|, s34
	v_rndne_f32_e32 v46, v28
	v_cvt_i32_f32_e32 v28, v46
	v_fma_f32 v44, v46, s35, |v42|
	v_fmac_f32_e32 v44, 0xb3a22168, v46
	v_fmac_f32_e32 v44, 0xa7c234c4, v46
	s_branch .LBB1_27
.LBB1_32:
	s_mov_b32 s4, 0x43020000
	v_cmp_gt_f32_e32 vcc, s4, v33
	s_and_b64 exec, exec, vcc
	s_cbranch_execz .LBB1_212
; %bb.33:
	s_mov_b64 s[4:5], exec
	v_bfrev_b32_e32 v30, 1
.LBB1_34:                               ; =>This Inner Loop Header: Depth=1
	s_ff1_i32_b64 s6, s[4:5]
	v_readlane_b32 s8, v24, s6
	s_lshl_b64 s[6:7], 1, s6
	s_andn2_b64 s[4:5], s[4:5], s[6:7]
	s_cmp_lg_u64 s[4:5], 0
	v_add_f32_e32 v30, s8, v30
	s_cbranch_scc1 .LBB1_34
; %bb.35:
	v_mbcnt_lo_u32_b32 v24, exec_lo, 0
	v_mbcnt_hi_u32_b32 v24, exec_hi, v24
	v_cmp_eq_u32_e32 vcc, 0, v24
	s_and_saveexec_b64 s[4:5], vcc
	s_xor_b64 s[4:5], exec, s[4:5]
	s_cbranch_execz .LBB1_39
; %bb.36:
	s_waitcnt lgkmcnt(0)
	s_load_dword s8, s[12:13], 0x0
	s_mov_b64 s[6:7], 0
	v_mov_b32_e32 v24, 0
	s_waitcnt lgkmcnt(0)
	v_mov_b32_e32 v29, s8
.LBB1_37:                               ; =>This Inner Loop Header: Depth=1
	v_add_f32_e32 v28, v29, v30
	global_atomic_cmpswap v28, v24, v[28:29], s[12:13] glc
	s_waitcnt vmcnt(0)
	v_cmp_eq_u32_e32 vcc, v28, v29
	s_or_b64 s[6:7], vcc, s[6:7]
	v_mov_b32_e32 v29, v28
	s_andn2_b64 exec, exec, s[6:7]
	s_cbranch_execnz .LBB1_37
; %bb.38:
	s_or_b64 exec, exec, s[6:7]
.LBB1_39:
	s_or_b64 exec, exec, s[4:5]
	s_mov_b64 s[4:5], exec
	v_bfrev_b32_e32 v28, 1
.LBB1_40:                               ; =>This Inner Loop Header: Depth=1
	s_ff1_i32_b64 s6, s[4:5]
	v_readlane_b32 s8, v25, s6
	s_lshl_b64 s[6:7], 1, s6
	s_andn2_b64 s[4:5], s[4:5], s[6:7]
	s_cmp_lg_u64 s[4:5], 0
	v_add_f32_e32 v28, s8, v28
	s_cbranch_scc1 .LBB1_40
; %bb.41:
	v_mbcnt_lo_u32_b32 v24, exec_lo, 0
	v_mbcnt_hi_u32_b32 v24, exec_hi, v24
	v_cmp_eq_u32_e32 vcc, 0, v24
	s_and_saveexec_b64 s[4:5], vcc
	s_xor_b64 s[4:5], exec, s[4:5]
	s_cbranch_execz .LBB1_45
; %bb.42:
	s_waitcnt lgkmcnt(0)
	s_load_dword s8, s[12:13], 0x4
	s_mov_b64 s[6:7], 0
	v_mov_b32_e32 v29, 0
	s_waitcnt lgkmcnt(0)
	v_mov_b32_e32 v25, s8
.LBB1_43:                               ; =>This Inner Loop Header: Depth=1
	v_add_f32_e32 v24, v25, v28
	global_atomic_cmpswap v24, v29, v[24:25], s[12:13] offset:4 glc
	s_waitcnt vmcnt(0)
	v_cmp_eq_u32_e32 vcc, v24, v25
	s_or_b64 s[6:7], vcc, s[6:7]
	v_mov_b32_e32 v25, v24
	s_andn2_b64 exec, exec, s[6:7]
	s_cbranch_execnz .LBB1_43
; %bb.44:
	s_or_b64 exec, exec, s[6:7]
.LBB1_45:
	s_or_b64 exec, exec, s[4:5]
	s_mov_b64 s[4:5], exec
	v_bfrev_b32_e32 v28, 1
.LBB1_46:                               ; =>This Inner Loop Header: Depth=1
	s_ff1_i32_b64 s6, s[4:5]
	v_readlane_b32 s8, v26, s6
	s_lshl_b64 s[6:7], 1, s6
	s_andn2_b64 s[4:5], s[4:5], s[6:7]
	s_cmp_lg_u64 s[4:5], 0
	v_add_f32_e32 v28, s8, v28
	s_cbranch_scc1 .LBB1_46
; %bb.47:
	v_mbcnt_lo_u32_b32 v24, exec_lo, 0
	v_mbcnt_hi_u32_b32 v24, exec_hi, v24
	v_cmp_eq_u32_e32 vcc, 0, v24
	s_and_saveexec_b64 s[4:5], vcc
	s_xor_b64 s[4:5], exec, s[4:5]
	s_cbranch_execz .LBB1_51
; %bb.48:
	s_waitcnt lgkmcnt(0)
	s_load_dword s8, s[12:13], 0x8
	s_mov_b64 s[6:7], 0
	v_mov_b32_e32 v26, 0
	s_waitcnt lgkmcnt(0)
	v_mov_b32_e32 v25, s8
.LBB1_49:                               ; =>This Inner Loop Header: Depth=1
	v_add_f32_e32 v24, v25, v28
	global_atomic_cmpswap v24, v26, v[24:25], s[12:13] offset:8 glc
	s_waitcnt vmcnt(0)
	v_cmp_eq_u32_e32 vcc, v24, v25
	s_or_b64 s[6:7], vcc, s[6:7]
	v_mov_b32_e32 v25, v24
	s_andn2_b64 exec, exec, s[6:7]
	s_cbranch_execnz .LBB1_49
; %bb.50:
	s_or_b64 exec, exec, s[6:7]
.LBB1_51:
	;; [unrolled: 37-line block ×10, first 2 shown]
	s_or_b64 exec, exec, s[4:5]
	s_mov_b64 s[4:5], exec
	v_bfrev_b32_e32 v18, 1
.LBB1_100:                              ; =>This Inner Loop Header: Depth=1
	s_ff1_i32_b64 s6, s[4:5]
	v_readlane_b32 s8, v19, s6
	s_lshl_b64 s[6:7], 1, s6
	s_andn2_b64 s[4:5], s[4:5], s[6:7]
	s_cmp_lg_u64 s[4:5], 0
	v_add_f32_e32 v18, s8, v18
	s_cbranch_scc1 .LBB1_100
; %bb.101:
	v_mbcnt_lo_u32_b32 v16, exec_lo, 0
	v_mbcnt_hi_u32_b32 v16, exec_hi, v16
	v_cmp_eq_u32_e32 vcc, 0, v16
	s_and_saveexec_b64 s[4:5], vcc
	s_xor_b64 s[4:5], exec, s[4:5]
	s_cbranch_execz .LBB1_105
; %bb.102:
	s_waitcnt lgkmcnt(0)
	s_load_dword s8, s[12:13], 0x2c
	s_mov_b64 s[6:7], 0
	v_mov_b32_e32 v19, 0
	s_waitcnt lgkmcnt(0)
	v_mov_b32_e32 v17, s8
.LBB1_103:                              ; =>This Inner Loop Header: Depth=1
	v_add_f32_e32 v16, v17, v18
	global_atomic_cmpswap v16, v19, v[16:17], s[12:13] offset:44 glc
	s_waitcnt vmcnt(0)
	v_cmp_eq_u32_e32 vcc, v16, v17
	s_or_b64 s[6:7], vcc, s[6:7]
	v_mov_b32_e32 v17, v16
	s_andn2_b64 exec, exec, s[6:7]
	s_cbranch_execnz .LBB1_103
; %bb.104:
	s_or_b64 exec, exec, s[6:7]
.LBB1_105:
	s_or_b64 exec, exec, s[4:5]
	s_mov_b64 s[4:5], exec
	v_bfrev_b32_e32 v18, 1
.LBB1_106:                              ; =>This Inner Loop Header: Depth=1
	s_ff1_i32_b64 s6, s[4:5]
	v_readlane_b32 s8, v12, s6
	s_lshl_b64 s[6:7], 1, s6
	s_andn2_b64 s[4:5], s[4:5], s[6:7]
	s_cmp_lg_u64 s[4:5], 0
	v_add_f32_e32 v18, s8, v18
	s_cbranch_scc1 .LBB1_106
; %bb.107:
	v_mbcnt_lo_u32_b32 v12, exec_lo, 0
	v_mbcnt_hi_u32_b32 v12, exec_hi, v12
	v_cmp_eq_u32_e32 vcc, 0, v12
	s_and_saveexec_b64 s[4:5], vcc
	s_xor_b64 s[4:5], exec, s[4:5]
	s_cbranch_execz .LBB1_111
; %bb.108:
	s_waitcnt lgkmcnt(0)
	s_load_dword s8, s[12:13], 0x30
	s_mov_b64 s[6:7], 0
	v_mov_b32_e32 v12, 0
	s_waitcnt lgkmcnt(0)
	v_mov_b32_e32 v17, s8
.LBB1_109:                              ; =>This Inner Loop Header: Depth=1
	v_add_f32_e32 v16, v17, v18
	global_atomic_cmpswap v16, v12, v[16:17], s[12:13] offset:48 glc
	s_waitcnt vmcnt(0)
	v_cmp_eq_u32_e32 vcc, v16, v17
	s_or_b64 s[6:7], vcc, s[6:7]
	v_mov_b32_e32 v17, v16
	s_andn2_b64 exec, exec, s[6:7]
	s_cbranch_execnz .LBB1_109
; %bb.110:
	s_or_b64 exec, exec, s[6:7]
.LBB1_111:
	;; [unrolled: 37-line block ×18, first 2 shown]
	s_or_b64 exec, exec, s[4:5]
	s_mov_b64 s[4:5], exec
	v_bfrev_b32_e32 v2, 1
.LBB1_208:                              ; =>This Inner Loop Header: Depth=1
	s_ff1_i32_b64 s6, s[4:5]
	v_readlane_b32 s8, v41, s6
	s_lshl_b64 s[6:7], 1, s6
	s_andn2_b64 s[4:5], s[4:5], s[6:7]
	s_cmp_lg_u64 s[4:5], 0
	v_add_f32_e32 v2, s8, v2
	s_cbranch_scc1 .LBB1_208
; %bb.209:
	v_mbcnt_lo_u32_b32 v0, exec_lo, 0
	v_mbcnt_hi_u32_b32 v0, exec_hi, v0
	v_cmp_eq_u32_e32 vcc, 0, v0
	s_and_saveexec_b64 s[4:5], vcc
	s_xor_b64 s[4:5], exec, s[4:5]
	s_cbranch_execz .LBB1_212
; %bb.210:
	s_waitcnt lgkmcnt(0)
	s_load_dword s6, s[12:13], 0x74
	s_mov_b64 s[4:5], 0
	v_mov_b32_e32 v3, 0
	s_waitcnt lgkmcnt(0)
	v_mov_b32_e32 v1, s6
.LBB1_211:                              ; =>This Inner Loop Header: Depth=1
	v_add_f32_e32 v0, v1, v2
	global_atomic_cmpswap v0, v3, v[0:1], s[12:13] offset:116 glc
	s_waitcnt vmcnt(0)
	v_cmp_eq_u32_e32 vcc, v0, v1
	s_or_b64 s[4:5], vcc, s[4:5]
	v_mov_b32_e32 v1, v0
	s_andn2_b64 exec, exec, s[4:5]
	s_cbranch_execnz .LBB1_211
.LBB1_212:
	s_endpgm
	.section	.rodata,"a",@progbits
	.p2align	6, 0x0
	.amdhsa_kernel _Z17kernelUpdatePBestPKfPfS1_i
		.amdhsa_group_segment_fixed_size 0
		.amdhsa_private_segment_fixed_size 256
		.amdhsa_kernarg_size 288
		.amdhsa_user_sgpr_count 6
		.amdhsa_user_sgpr_private_segment_buffer 1
		.amdhsa_user_sgpr_dispatch_ptr 0
		.amdhsa_user_sgpr_queue_ptr 0
		.amdhsa_user_sgpr_kernarg_segment_ptr 1
		.amdhsa_user_sgpr_dispatch_id 0
		.amdhsa_user_sgpr_flat_scratch_init 0
		.amdhsa_user_sgpr_private_segment_size 0
		.amdhsa_uses_dynamic_stack 0
		.amdhsa_system_sgpr_private_segment_wavefront_offset 1
		.amdhsa_system_sgpr_workgroup_id_x 1
		.amdhsa_system_sgpr_workgroup_id_y 0
		.amdhsa_system_sgpr_workgroup_id_z 0
		.amdhsa_system_sgpr_workgroup_info 0
		.amdhsa_system_vgpr_workitem_id 0
		.amdhsa_next_free_vgpr 63
		.amdhsa_next_free_sgpr 42
		.amdhsa_reserve_vcc 1
		.amdhsa_reserve_flat_scratch 0
		.amdhsa_float_round_mode_32 0
		.amdhsa_float_round_mode_16_64 0
		.amdhsa_float_denorm_mode_32 3
		.amdhsa_float_denorm_mode_16_64 3
		.amdhsa_dx10_clamp 1
		.amdhsa_ieee_mode 1
		.amdhsa_fp16_overflow 0
		.amdhsa_exception_fp_ieee_invalid_op 0
		.amdhsa_exception_fp_denorm_src 0
		.amdhsa_exception_fp_ieee_div_zero 0
		.amdhsa_exception_fp_ieee_overflow 0
		.amdhsa_exception_fp_ieee_underflow 0
		.amdhsa_exception_fp_ieee_inexact 0
		.amdhsa_exception_int_div_zero 0
	.end_amdhsa_kernel
	.text
.Lfunc_end1:
	.size	_Z17kernelUpdatePBestPKfPfS1_i, .Lfunc_end1-_Z17kernelUpdatePBestPKfPfS1_i
                                        ; -- End function
	.set _Z17kernelUpdatePBestPKfPfS1_i.num_vgpr, 63
	.set _Z17kernelUpdatePBestPKfPfS1_i.num_agpr, 0
	.set _Z17kernelUpdatePBestPKfPfS1_i.numbered_sgpr, 42
	.set _Z17kernelUpdatePBestPKfPfS1_i.num_named_barrier, 0
	.set _Z17kernelUpdatePBestPKfPfS1_i.private_seg_size, 256
	.set _Z17kernelUpdatePBestPKfPfS1_i.uses_vcc, 1
	.set _Z17kernelUpdatePBestPKfPfS1_i.uses_flat_scratch, 0
	.set _Z17kernelUpdatePBestPKfPfS1_i.has_dyn_sized_stack, 0
	.set _Z17kernelUpdatePBestPKfPfS1_i.has_recursion, 0
	.set _Z17kernelUpdatePBestPKfPfS1_i.has_indirect_call, 0
	.section	.AMDGPU.csdata,"",@progbits
; Kernel info:
; codeLenInByte = 20124
; TotalNumSgprs: 46
; NumVgprs: 63
; ScratchSize: 256
; MemoryBound: 0
; FloatMode: 240
; IeeeMode: 1
; LDSByteSize: 0 bytes/workgroup (compile time only)
; SGPRBlocks: 5
; VGPRBlocks: 15
; NumSGPRsForWavesPerEU: 46
; NumVGPRsForWavesPerEU: 63
; Occupancy: 4
; WaveLimiterHint : 0
; COMPUTE_PGM_RSRC2:SCRATCH_EN: 1
; COMPUTE_PGM_RSRC2:USER_SGPR: 6
; COMPUTE_PGM_RSRC2:TRAP_HANDLER: 0
; COMPUTE_PGM_RSRC2:TGID_X_EN: 1
; COMPUTE_PGM_RSRC2:TGID_Y_EN: 0
; COMPUTE_PGM_RSRC2:TGID_Z_EN: 0
; COMPUTE_PGM_RSRC2:TIDIG_COMP_CNT: 0
	.section	.AMDGPU.gpr_maximums,"",@progbits
	.set amdgpu.max_num_vgpr, 0
	.set amdgpu.max_num_agpr, 0
	.set amdgpu.max_num_sgpr, 0
	.section	.AMDGPU.csdata,"",@progbits
	.type	__hip_cuid_518192881ea815bb,@object ; @__hip_cuid_518192881ea815bb
	.section	.bss,"aw",@nobits
	.globl	__hip_cuid_518192881ea815bb
__hip_cuid_518192881ea815bb:
	.byte	0                               ; 0x0
	.size	__hip_cuid_518192881ea815bb, 1

	.ident	"AMD clang version 22.0.0git (https://github.com/RadeonOpenCompute/llvm-project roc-7.2.4 26084 f58b06dce1f9c15707c5f808fd002e18c2accf7e)"
	.section	".note.GNU-stack","",@progbits
	.addrsig
	.addrsig_sym __hip_cuid_518192881ea815bb
	.amdgpu_metadata
---
amdhsa.kernels:
  - .args:
      - .address_space:  global
        .offset:         0
        .size:           8
        .value_kind:     global_buffer
      - .address_space:  global
        .offset:         8
        .size:           8
        .value_kind:     global_buffer
      - .actual_access:  read_only
        .address_space:  global
        .offset:         16
        .size:           8
        .value_kind:     global_buffer
      - .actual_access:  read_only
        .address_space:  global
        .offset:         24
        .size:           8
        .value_kind:     global_buffer
      - .offset:         32
        .size:           4
        .value_kind:     by_value
      - .offset:         36
        .size:           4
        .value_kind:     by_value
      - .offset:         40
        .size:           4
        .value_kind:     by_value
      - .offset:         48
        .size:           4
        .value_kind:     hidden_block_count_x
      - .offset:         52
        .size:           4
        .value_kind:     hidden_block_count_y
      - .offset:         56
        .size:           4
        .value_kind:     hidden_block_count_z
      - .offset:         60
        .size:           2
        .value_kind:     hidden_group_size_x
      - .offset:         62
        .size:           2
        .value_kind:     hidden_group_size_y
      - .offset:         64
        .size:           2
        .value_kind:     hidden_group_size_z
      - .offset:         66
        .size:           2
        .value_kind:     hidden_remainder_x
      - .offset:         68
        .size:           2
        .value_kind:     hidden_remainder_y
      - .offset:         70
        .size:           2
        .value_kind:     hidden_remainder_z
      - .offset:         88
        .size:           8
        .value_kind:     hidden_global_offset_x
      - .offset:         96
        .size:           8
        .value_kind:     hidden_global_offset_y
      - .offset:         104
        .size:           8
        .value_kind:     hidden_global_offset_z
      - .offset:         112
        .size:           2
        .value_kind:     hidden_grid_dims
    .group_segment_fixed_size: 0
    .kernarg_segment_align: 8
    .kernarg_segment_size: 304
    .language:       OpenCL C
    .language_version:
      - 2
      - 0
    .max_flat_workgroup_size: 1024
    .name:           _Z20kernelUpdateParticlePfS_PKfS1_iff
    .private_segment_fixed_size: 0
    .sgpr_count:     20
    .sgpr_spill_count: 0
    .symbol:         _Z20kernelUpdateParticlePfS_PKfS1_iff.kd
    .uniform_work_group_size: 1
    .uses_dynamic_stack: false
    .vgpr_count:     10
    .vgpr_spill_count: 0
    .wavefront_size: 64
  - .args:
      - .actual_access:  read_only
        .address_space:  global
        .offset:         0
        .size:           8
        .value_kind:     global_buffer
      - .address_space:  global
        .offset:         8
        .size:           8
        .value_kind:     global_buffer
      - .address_space:  global
        .offset:         16
        .size:           8
        .value_kind:     global_buffer
      - .offset:         24
        .size:           4
        .value_kind:     by_value
      - .offset:         32
        .size:           4
        .value_kind:     hidden_block_count_x
      - .offset:         36
        .size:           4
        .value_kind:     hidden_block_count_y
      - .offset:         40
        .size:           4
        .value_kind:     hidden_block_count_z
      - .offset:         44
        .size:           2
        .value_kind:     hidden_group_size_x
      - .offset:         46
        .size:           2
        .value_kind:     hidden_group_size_y
      - .offset:         48
        .size:           2
        .value_kind:     hidden_group_size_z
      - .offset:         50
        .size:           2
        .value_kind:     hidden_remainder_x
      - .offset:         52
        .size:           2
        .value_kind:     hidden_remainder_y
      - .offset:         54
        .size:           2
        .value_kind:     hidden_remainder_z
      - .offset:         72
        .size:           8
        .value_kind:     hidden_global_offset_x
      - .offset:         80
        .size:           8
        .value_kind:     hidden_global_offset_y
      - .offset:         88
        .size:           8
        .value_kind:     hidden_global_offset_z
      - .offset:         96
        .size:           2
        .value_kind:     hidden_grid_dims
    .group_segment_fixed_size: 0
    .kernarg_segment_align: 8
    .kernarg_segment_size: 288
    .language:       OpenCL C
    .language_version:
      - 2
      - 0
    .max_flat_workgroup_size: 1024
    .name:           _Z17kernelUpdatePBestPKfPfS1_i
    .private_segment_fixed_size: 256
    .sgpr_count:     46
    .sgpr_spill_count: 0
    .symbol:         _Z17kernelUpdatePBestPKfPfS1_i.kd
    .uniform_work_group_size: 1
    .uses_dynamic_stack: false
    .vgpr_count:     63
    .vgpr_spill_count: 0
    .wavefront_size: 64
amdhsa.target:   amdgcn-amd-amdhsa--gfx906
amdhsa.version:
  - 1
  - 2
...

	.end_amdgpu_metadata
